;; amdgpu-corpus repo=ROCm/rocFFT kind=compiled arch=gfx1201 opt=O3
	.text
	.amdgcn_target "amdgcn-amd-amdhsa--gfx1201"
	.amdhsa_code_object_version 6
	.protected	fft_rtc_back_len680_factors_17_4_10_wgs_204_tpt_68_halfLds_half_ip_CI_unitstride_sbrr_R2C_dirReg ; -- Begin function fft_rtc_back_len680_factors_17_4_10_wgs_204_tpt_68_halfLds_half_ip_CI_unitstride_sbrr_R2C_dirReg
	.globl	fft_rtc_back_len680_factors_17_4_10_wgs_204_tpt_68_halfLds_half_ip_CI_unitstride_sbrr_R2C_dirReg
	.p2align	8
	.type	fft_rtc_back_len680_factors_17_4_10_wgs_204_tpt_68_halfLds_half_ip_CI_unitstride_sbrr_R2C_dirReg,@function
fft_rtc_back_len680_factors_17_4_10_wgs_204_tpt_68_halfLds_half_ip_CI_unitstride_sbrr_R2C_dirReg: ; @fft_rtc_back_len680_factors_17_4_10_wgs_204_tpt_68_halfLds_half_ip_CI_unitstride_sbrr_R2C_dirReg
; %bb.0:
	s_load_b128 s[4:7], s[0:1], 0x0
	v_mul_u32_u24_e32 v1, 0x3c4, v0
	s_clause 0x1
	s_load_b64 s[8:9], s[0:1], 0x50
	s_load_b64 s[10:11], s[0:1], 0x18
	v_mov_b32_e32 v5, 0
	v_lshrrev_b32_e32 v1, 16, v1
	s_delay_alu instid0(VALU_DEP_1) | instskip(SKIP_3) | instid1(VALU_DEP_1)
	v_mad_co_u64_u32 v[1:2], null, ttmp9, 3, v[1:2]
	v_mov_b32_e32 v3, 0
	v_mov_b32_e32 v4, 0
	;; [unrolled: 1-line block ×4, first 2 shown]
	s_wait_kmcnt 0x0
	v_cmp_lt_u64_e64 s2, s[6:7], 2
	v_mov_b32_e32 v9, v1
	s_delay_alu instid0(VALU_DEP_2)
	s_and_b32 vcc_lo, exec_lo, s2
	s_cbranch_vccnz .LBB0_8
; %bb.1:
	s_load_b64 s[2:3], s[0:1], 0x10
	v_dual_mov_b32 v3, 0 :: v_dual_mov_b32 v8, v2
	v_dual_mov_b32 v4, 0 :: v_dual_mov_b32 v7, v1
	s_add_nc_u64 s[12:13], s[10:11], 8
	s_mov_b64 s[14:15], 1
	s_wait_kmcnt 0x0
	s_add_nc_u64 s[16:17], s[2:3], 8
	s_mov_b32 s3, 0
.LBB0_2:                                ; =>This Inner Loop Header: Depth=1
	s_load_b64 s[18:19], s[16:17], 0x0
                                        ; implicit-def: $vgpr9_vgpr10
	s_mov_b32 s2, exec_lo
	s_wait_kmcnt 0x0
	v_or_b32_e32 v6, s19, v8
	s_delay_alu instid0(VALU_DEP_1)
	v_cmpx_ne_u64_e32 0, v[5:6]
	s_wait_alu 0xfffe
	s_xor_b32 s20, exec_lo, s2
	s_cbranch_execz .LBB0_4
; %bb.3:                                ;   in Loop: Header=BB0_2 Depth=1
	s_cvt_f32_u32 s2, s18
	s_cvt_f32_u32 s21, s19
	s_sub_nc_u64 s[24:25], 0, s[18:19]
	s_wait_alu 0xfffe
	s_delay_alu instid0(SALU_CYCLE_1) | instskip(SKIP_1) | instid1(SALU_CYCLE_2)
	s_fmamk_f32 s2, s21, 0x4f800000, s2
	s_wait_alu 0xfffe
	v_s_rcp_f32 s2, s2
	s_delay_alu instid0(TRANS32_DEP_1) | instskip(SKIP_1) | instid1(SALU_CYCLE_2)
	s_mul_f32 s2, s2, 0x5f7ffffc
	s_wait_alu 0xfffe
	s_mul_f32 s21, s2, 0x2f800000
	s_wait_alu 0xfffe
	s_delay_alu instid0(SALU_CYCLE_2) | instskip(SKIP_1) | instid1(SALU_CYCLE_2)
	s_trunc_f32 s21, s21
	s_wait_alu 0xfffe
	s_fmamk_f32 s2, s21, 0xcf800000, s2
	s_cvt_u32_f32 s23, s21
	s_wait_alu 0xfffe
	s_delay_alu instid0(SALU_CYCLE_1) | instskip(SKIP_1) | instid1(SALU_CYCLE_2)
	s_cvt_u32_f32 s22, s2
	s_wait_alu 0xfffe
	s_mul_u64 s[26:27], s[24:25], s[22:23]
	s_wait_alu 0xfffe
	s_mul_hi_u32 s29, s22, s27
	s_mul_i32 s28, s22, s27
	s_mul_hi_u32 s2, s22, s26
	s_mul_i32 s30, s23, s26
	s_wait_alu 0xfffe
	s_add_nc_u64 s[28:29], s[2:3], s[28:29]
	s_mul_hi_u32 s21, s23, s26
	s_mul_hi_u32 s31, s23, s27
	s_add_co_u32 s2, s28, s30
	s_wait_alu 0xfffe
	s_add_co_ci_u32 s2, s29, s21
	s_mul_i32 s26, s23, s27
	s_add_co_ci_u32 s27, s31, 0
	s_wait_alu 0xfffe
	s_add_nc_u64 s[26:27], s[2:3], s[26:27]
	s_wait_alu 0xfffe
	v_add_co_u32 v2, s2, s22, s26
	s_delay_alu instid0(VALU_DEP_1) | instskip(SKIP_1) | instid1(VALU_DEP_1)
	s_cmp_lg_u32 s2, 0
	s_add_co_ci_u32 s23, s23, s27
	v_readfirstlane_b32 s22, v2
	s_wait_alu 0xfffe
	s_delay_alu instid0(VALU_DEP_1)
	s_mul_u64 s[24:25], s[24:25], s[22:23]
	s_wait_alu 0xfffe
	s_mul_hi_u32 s27, s22, s25
	s_mul_i32 s26, s22, s25
	s_mul_hi_u32 s2, s22, s24
	s_mul_i32 s28, s23, s24
	s_wait_alu 0xfffe
	s_add_nc_u64 s[26:27], s[2:3], s[26:27]
	s_mul_hi_u32 s21, s23, s24
	s_mul_hi_u32 s22, s23, s25
	s_wait_alu 0xfffe
	s_add_co_u32 s2, s26, s28
	s_add_co_ci_u32 s2, s27, s21
	s_mul_i32 s24, s23, s25
	s_add_co_ci_u32 s25, s22, 0
	s_wait_alu 0xfffe
	s_add_nc_u64 s[24:25], s[2:3], s[24:25]
	s_wait_alu 0xfffe
	v_add_co_u32 v2, s2, v2, s24
	s_delay_alu instid0(VALU_DEP_1) | instskip(SKIP_1) | instid1(VALU_DEP_1)
	s_cmp_lg_u32 s2, 0
	s_add_co_ci_u32 s2, s23, s25
	v_mul_hi_u32 v6, v7, v2
	s_wait_alu 0xfffe
	v_mad_co_u64_u32 v[9:10], null, v7, s2, 0
	v_mad_co_u64_u32 v[11:12], null, v8, v2, 0
	;; [unrolled: 1-line block ×3, first 2 shown]
	s_delay_alu instid0(VALU_DEP_3) | instskip(SKIP_1) | instid1(VALU_DEP_4)
	v_add_co_u32 v2, vcc_lo, v6, v9
	s_wait_alu 0xfffd
	v_add_co_ci_u32_e32 v6, vcc_lo, 0, v10, vcc_lo
	s_delay_alu instid0(VALU_DEP_2) | instskip(SKIP_1) | instid1(VALU_DEP_2)
	v_add_co_u32 v2, vcc_lo, v2, v11
	s_wait_alu 0xfffd
	v_add_co_ci_u32_e32 v2, vcc_lo, v6, v12, vcc_lo
	s_wait_alu 0xfffd
	v_add_co_ci_u32_e32 v6, vcc_lo, 0, v14, vcc_lo
	s_delay_alu instid0(VALU_DEP_2) | instskip(SKIP_1) | instid1(VALU_DEP_2)
	v_add_co_u32 v2, vcc_lo, v2, v13
	s_wait_alu 0xfffd
	v_add_co_ci_u32_e32 v6, vcc_lo, 0, v6, vcc_lo
	s_delay_alu instid0(VALU_DEP_2) | instskip(SKIP_1) | instid1(VALU_DEP_3)
	v_mul_lo_u32 v11, s19, v2
	v_mad_co_u64_u32 v[9:10], null, s18, v2, 0
	v_mul_lo_u32 v12, s18, v6
	s_delay_alu instid0(VALU_DEP_2) | instskip(NEXT) | instid1(VALU_DEP_2)
	v_sub_co_u32 v9, vcc_lo, v7, v9
	v_add3_u32 v10, v10, v12, v11
	s_delay_alu instid0(VALU_DEP_1) | instskip(SKIP_1) | instid1(VALU_DEP_1)
	v_sub_nc_u32_e32 v11, v8, v10
	s_wait_alu 0xfffd
	v_subrev_co_ci_u32_e64 v11, s2, s19, v11, vcc_lo
	v_add_co_u32 v12, s2, v2, 2
	s_wait_alu 0xf1ff
	v_add_co_ci_u32_e64 v13, s2, 0, v6, s2
	v_sub_co_u32 v14, s2, v9, s18
	v_sub_co_ci_u32_e32 v10, vcc_lo, v8, v10, vcc_lo
	s_wait_alu 0xf1ff
	v_subrev_co_ci_u32_e64 v11, s2, 0, v11, s2
	s_delay_alu instid0(VALU_DEP_3) | instskip(NEXT) | instid1(VALU_DEP_3)
	v_cmp_le_u32_e32 vcc_lo, s18, v14
	v_cmp_eq_u32_e64 s2, s19, v10
	s_wait_alu 0xfffd
	v_cndmask_b32_e64 v14, 0, -1, vcc_lo
	v_cmp_le_u32_e32 vcc_lo, s19, v11
	s_wait_alu 0xfffd
	v_cndmask_b32_e64 v15, 0, -1, vcc_lo
	v_cmp_le_u32_e32 vcc_lo, s18, v9
	;; [unrolled: 3-line block ×3, first 2 shown]
	s_wait_alu 0xfffd
	v_cndmask_b32_e64 v16, 0, -1, vcc_lo
	v_cmp_eq_u32_e32 vcc_lo, s19, v11
	s_wait_alu 0xf1ff
	s_delay_alu instid0(VALU_DEP_2)
	v_cndmask_b32_e64 v9, v16, v9, s2
	s_wait_alu 0xfffd
	v_cndmask_b32_e32 v11, v15, v14, vcc_lo
	v_add_co_u32 v14, vcc_lo, v2, 1
	s_wait_alu 0xfffd
	v_add_co_ci_u32_e32 v15, vcc_lo, 0, v6, vcc_lo
	s_delay_alu instid0(VALU_DEP_3) | instskip(SKIP_1) | instid1(VALU_DEP_2)
	v_cmp_ne_u32_e32 vcc_lo, 0, v11
	s_wait_alu 0xfffd
	v_dual_cndmask_b32 v10, v15, v13 :: v_dual_cndmask_b32 v11, v14, v12
	v_cmp_ne_u32_e32 vcc_lo, 0, v9
	s_wait_alu 0xfffd
	s_delay_alu instid0(VALU_DEP_2) | instskip(NEXT) | instid1(VALU_DEP_3)
	v_cndmask_b32_e32 v10, v6, v10, vcc_lo
	v_cndmask_b32_e32 v9, v2, v11, vcc_lo
.LBB0_4:                                ;   in Loop: Header=BB0_2 Depth=1
	s_wait_alu 0xfffe
	s_and_not1_saveexec_b32 s2, s20
	s_cbranch_execz .LBB0_6
; %bb.5:                                ;   in Loop: Header=BB0_2 Depth=1
	v_cvt_f32_u32_e32 v2, s18
	s_sub_co_i32 s20, 0, s18
	s_delay_alu instid0(VALU_DEP_1) | instskip(NEXT) | instid1(TRANS32_DEP_1)
	v_rcp_iflag_f32_e32 v2, v2
	v_mul_f32_e32 v2, 0x4f7ffffe, v2
	s_delay_alu instid0(VALU_DEP_1) | instskip(SKIP_1) | instid1(VALU_DEP_1)
	v_cvt_u32_f32_e32 v2, v2
	s_wait_alu 0xfffe
	v_mul_lo_u32 v6, s20, v2
	s_delay_alu instid0(VALU_DEP_1) | instskip(NEXT) | instid1(VALU_DEP_1)
	v_mul_hi_u32 v6, v2, v6
	v_add_nc_u32_e32 v2, v2, v6
	s_delay_alu instid0(VALU_DEP_1) | instskip(NEXT) | instid1(VALU_DEP_1)
	v_mul_hi_u32 v2, v7, v2
	v_mul_lo_u32 v6, v2, s18
	v_add_nc_u32_e32 v9, 1, v2
	s_delay_alu instid0(VALU_DEP_2) | instskip(NEXT) | instid1(VALU_DEP_1)
	v_sub_nc_u32_e32 v6, v7, v6
	v_subrev_nc_u32_e32 v10, s18, v6
	v_cmp_le_u32_e32 vcc_lo, s18, v6
	s_wait_alu 0xfffd
	s_delay_alu instid0(VALU_DEP_2) | instskip(SKIP_2) | instid1(VALU_DEP_3)
	v_cndmask_b32_e32 v6, v6, v10, vcc_lo
	v_mov_b32_e32 v10, v5
	v_cndmask_b32_e32 v2, v2, v9, vcc_lo
	v_cmp_le_u32_e32 vcc_lo, s18, v6
	s_delay_alu instid0(VALU_DEP_2) | instskip(SKIP_1) | instid1(VALU_DEP_1)
	v_add_nc_u32_e32 v9, 1, v2
	s_wait_alu 0xfffd
	v_cndmask_b32_e32 v9, v2, v9, vcc_lo
.LBB0_6:                                ;   in Loop: Header=BB0_2 Depth=1
	s_wait_alu 0xfffe
	s_or_b32 exec_lo, exec_lo, s2
	s_load_b64 s[20:21], s[12:13], 0x0
	v_mul_lo_u32 v2, v10, s18
	v_mul_lo_u32 v6, v9, s19
	v_mad_co_u64_u32 v[11:12], null, v9, s18, 0
	s_add_nc_u64 s[14:15], s[14:15], 1
	s_add_nc_u64 s[12:13], s[12:13], 8
	s_wait_alu 0xfffe
	v_cmp_ge_u64_e64 s2, s[14:15], s[6:7]
	s_add_nc_u64 s[16:17], s[16:17], 8
	s_delay_alu instid0(VALU_DEP_2) | instskip(NEXT) | instid1(VALU_DEP_3)
	v_add3_u32 v2, v12, v6, v2
	v_sub_co_u32 v6, vcc_lo, v7, v11
	s_wait_alu 0xfffd
	s_delay_alu instid0(VALU_DEP_2) | instskip(SKIP_3) | instid1(VALU_DEP_2)
	v_sub_co_ci_u32_e32 v2, vcc_lo, v8, v2, vcc_lo
	s_and_b32 vcc_lo, exec_lo, s2
	s_wait_kmcnt 0x0
	v_mul_lo_u32 v7, s21, v6
	v_mul_lo_u32 v2, s20, v2
	v_mad_co_u64_u32 v[3:4], null, s20, v6, v[3:4]
	s_delay_alu instid0(VALU_DEP_1)
	v_add3_u32 v4, v7, v4, v2
	s_wait_alu 0xfffe
	s_cbranch_vccnz .LBB0_8
; %bb.7:                                ;   in Loop: Header=BB0_2 Depth=1
	v_dual_mov_b32 v7, v9 :: v_dual_mov_b32 v8, v10
	s_branch .LBB0_2
.LBB0_8:
	s_lshl_b64 s[2:3], s[6:7], 3
	v_mul_hi_u32 v2, 0xaaaaaaab, v1
	s_wait_alu 0xfffe
	s_add_nc_u64 s[2:3], s[10:11], s[2:3]
	s_load_b64 s[0:1], s[0:1], 0x20
	s_load_b64 s[2:3], s[2:3], 0x0
	v_mul_hi_u32 v5, 0x3c3c3c4, v0
	s_delay_alu instid0(VALU_DEP_2) | instskip(NEXT) | instid1(VALU_DEP_1)
	v_lshrrev_b32_e32 v2, 1, v2
	v_lshl_add_u32 v6, v2, 1, v2
	s_delay_alu instid0(VALU_DEP_1)
	v_sub_nc_u32_e32 v1, v1, v6
	s_wait_kmcnt 0x0
	v_cmp_gt_u64_e32 vcc_lo, s[0:1], v[9:10]
	v_mul_lo_u32 v7, s2, v10
	v_mul_lo_u32 v8, s3, v9
	v_mad_co_u64_u32 v[2:3], null, s2, v9, v[3:4]
	v_mul_u32_u24_e32 v4, 0x44, v5
	v_mul_u32_u24_e32 v1, 0x2a9, v1
	s_delay_alu instid0(VALU_DEP_2) | instskip(NEXT) | instid1(VALU_DEP_4)
	v_sub_nc_u32_e32 v0, v0, v4
	v_add3_u32 v3, v8, v3, v7
	s_delay_alu instid0(VALU_DEP_3) | instskip(NEXT) | instid1(VALU_DEP_3)
	v_lshlrev_b32_e32 v25, 2, v1
	v_lshlrev_b32_e32 v23, 2, v0
	s_delay_alu instid0(VALU_DEP_3)
	v_lshlrev_b64_e32 v[2:3], 2, v[2:3]
	s_and_saveexec_b32 s1, vcc_lo
	s_cbranch_execz .LBB0_10
; %bb.9:
	v_mov_b32_e32 v1, 0
	s_delay_alu instid0(VALU_DEP_1) | instskip(NEXT) | instid1(VALU_DEP_3)
	v_lshlrev_b64_e32 v[4:5], 2, v[0:1]
	v_add_co_u32 v1, s0, s8, v2
	s_wait_alu 0xf1ff
	v_add_co_ci_u32_e64 v6, s0, s9, v3, s0
	s_delay_alu instid0(VALU_DEP_2) | instskip(SKIP_1) | instid1(VALU_DEP_2)
	v_add_co_u32 v4, s0, v1, v4
	s_wait_alu 0xf1ff
	v_add_co_ci_u32_e64 v5, s0, v6, v5, s0
	s_clause 0x9
	global_load_b32 v1, v[4:5], off
	global_load_b32 v6, v[4:5], off offset:272
	global_load_b32 v7, v[4:5], off offset:544
	global_load_b32 v8, v[4:5], off offset:816
	global_load_b32 v9, v[4:5], off offset:1088
	global_load_b32 v10, v[4:5], off offset:1360
	global_load_b32 v11, v[4:5], off offset:1632
	global_load_b32 v12, v[4:5], off offset:1904
	global_load_b32 v13, v[4:5], off offset:2176
	global_load_b32 v4, v[4:5], off offset:2448
	v_add3_u32 v5, 0, v25, v23
	s_delay_alu instid0(VALU_DEP_1)
	v_add_nc_u32_e32 v14, 0x400, v5
	v_add_nc_u32_e32 v15, 0x800, v5
	s_wait_loadcnt 0x8
	ds_store_2addr_b32 v5, v1, v6 offset1:68
	s_wait_loadcnt 0x6
	ds_store_2addr_b32 v5, v7, v8 offset0:136 offset1:204
	s_wait_loadcnt 0x4
	ds_store_2addr_b32 v14, v9, v10 offset0:16 offset1:84
	;; [unrolled: 2-line block ×4, first 2 shown]
.LBB0_10:
	s_wait_alu 0xfffe
	s_or_b32 exec_lo, exec_lo, s1
	v_add3_u32 v24, 0, v23, v25
	v_add_nc_u32_e32 v1, 0, v25
	global_wb scope:SCOPE_SE
	s_wait_dscnt 0x0
	s_barrier_signal -1
	s_barrier_wait -1
	v_add_nc_u32_e32 v4, 0x800, v24
	v_add_nc_u32_e32 v22, v1, v23
	global_inv scope:SCOPE_SE
	v_add_nc_u32_e32 v26, 0x400, v24
	ds_load_2addr_b32 v[20:21], v24 offset0:40 offset1:80
	ds_load_2addr_b32 v[6:7], v4 offset0:88 offset1:128
	ds_load_b32 v28, v22
	ds_load_2addr_b32 v[18:19], v24 offset0:120 offset1:160
	ds_load_2addr_b32 v[8:9], v4 offset0:8 offset1:48
	;; [unrolled: 1-line block ×6, first 2 shown]
	s_mov_b32 s1, exec_lo
	global_wb scope:SCOPE_SE
	s_wait_dscnt 0x0
	s_barrier_signal -1
	s_barrier_wait -1
	global_inv scope:SCOPE_SE
	v_pk_add_f16 v51, v7, v20 op_sel:[1,1] op_sel_hi:[0,0]
	v_pk_add_f16 v49, v20, v7 op_sel:[1,1] op_sel_hi:[0,0] neg_lo:[0,1] neg_hi:[0,1]
	v_pk_add_f16 v33, v6, v21
	v_pk_add_f16 v34, v21, v6 neg_lo:[0,1] neg_hi:[0,1]
	v_lshrrev_b32_e32 v32, 16, v28
	v_mul_f16_e32 v65, 0xb8d2, v51
	v_lshrrev_b32_e32 v40, 16, v49
	v_lshrrev_b32_e32 v54, 16, v33
	v_pk_add_f16 v36, v18, v9 neg_lo:[0,1] neg_hi:[0,1]
	v_lshrrev_b32_e32 v37, 16, v51
	v_mul_f16_e32 v59, 0xba62, v49
	v_pk_mul_f16 v82, 0xb836b1e1, v49
	v_lshrrev_b32_e32 v52, 16, v34
	v_fmamk_f16 v27, v40, 0xba62, v65
	v_mul_f16_e32 v66, 0xb461, v54
	v_mul_f16_e32 v74, 0xb836, v49
	v_lshrrev_b32_e32 v50, 16, v36
	v_fma_f16 v5, v37, 0xb8d2, -v59
	v_pk_fma_f16 v30, 0xbbddbacd, v51, v82 op_sel:[0,0,1] op_sel_hi:[1,1,0]
	v_mul_f16_e32 v62, 0x3bb2, v52
	v_add_f16_e32 v27, v32, v27
	v_fmamk_f16 v39, v34, 0x3bb2, v66
	v_pk_mul_f16 v85, 0x37223b76, v33
	v_pk_add_f16 v35, v9, v18
	v_mul_f16_e32 v4, 0xbbdd, v51
	v_fma_f16 v29, v37, 0xbacd, -v74
	v_add_f16_e32 v5, v28, v5
	v_fma_f16 v38, v33, 0xb461, -v62
	v_pk_add_f16 v30, v28, v30 op_sel:[1,0] op_sel_hi:[0,1]
	v_add_f16_e32 v27, v39, v27
	v_mul_f16_e32 v75, 0x3b29, v52
	v_mul_f16_e32 v64, 0xb5c8, v50
	v_pk_fma_f16 v39, 0x35c83b29, v34, v85 op_sel:[0,0,1] op_sel_hi:[1,1,0]
	v_fmamk_f16 v31, v40, 0xb1e1, v4
	v_add_f16_e32 v29, v28, v29
	v_add_f16_e32 v5, v38, v5
	v_lshrrev_b32_e32 v56, 16, v35
	v_mul_f16_e32 v69, 0x3b76, v54
	v_fma_f16 v38, v33, 0x3722, -v75
	v_fma_f16 v42, v35, 0x3b76, -v64
	v_pk_add_f16 v30, v39, v30
	v_pk_add_f16 v39, v19, v8 neg_lo:[0,1] neg_hi:[0,1]
	v_pk_mul_f16 v86, 0x2de8bacd, v35
	v_add_f16_e32 v31, v32, v31
	v_mul_f16_e32 v68, 0x3b76, v56
	v_fmamk_f16 v41, v34, 0x35c8, v69
	v_add_f16_e32 v29, v38, v29
	v_add_f16_e32 v5, v42, v5
	v_pk_add_f16 v38, v8, v19
	v_mul_f16_e32 v77, 0xbbf7, v50
	v_lshrrev_b32_e32 v53, 16, v39
	v_pk_fma_f16 v42, 0xb836bbf7, v36, v86 op_sel:[0,0,1] op_sel_hi:[1,1,0]
	v_fmamk_f16 v43, v36, 0xb5c8, v68
	v_add_f16_e32 v31, v41, v31
	v_mul_f16_e32 v70, 0xbacd, v56
	v_lshrrev_b32_e32 v58, 16, v38
	v_fma_f16 v41, v35, 0x2de8, -v77
	v_mul_f16_e32 v71, 0xb836, v53
	v_pk_add_f16 v30, v42, v30
	v_pk_add_f16 v42, v16, v11 neg_lo:[0,1] neg_hi:[0,1]
	v_add_f16_e32 v27, v43, v27
	v_fmamk_f16 v43, v36, 0xb836, v70
	v_mul_f16_e32 v72, 0xbacd, v58
	v_add_f16_e32 v29, v41, v29
	v_fma_f16 v41, v38, 0xbacd, -v71
	v_pk_mul_f16 v89, 0xb8d239e9, v38
	v_lshrrev_b32_e32 v55, 16, v42
	v_add_f16_e32 v31, v43, v31
	v_fmamk_f16 v43, v39, 0xb836, v72
	v_mul_f16_e32 v76, 0x3a62, v53
	v_add_f16_e32 v5, v41, v5
	v_pk_fma_f16 v44, 0x39643a62, v39, v89 op_sel:[0,0,1] op_sel_hi:[1,1,0]
	v_pk_add_f16 v41, v11, v16
	v_mul_f16_e32 v73, 0x3bf7, v55
	v_add_f16_e32 v27, v43, v27
	v_fma_f16 v43, v38, 0xb8d2, -v76
	v_mul_f16_e32 v93, 0x39e9, v58
	v_pk_add_f16 v30, v44, v30
	v_pk_add_f16 v44, v17, v10 neg_lo:[0,1] neg_hi:[0,1]
	v_fma_f16 v45, v41, 0x2de8, -v73
	v_add_f16_e32 v29, v43, v29
	v_fmamk_f16 v43, v39, 0x3964, v93
	v_mul_f16_e32 v83, 0xb5c8, v55
	v_lshrrev_b32_e32 v57, 16, v44
	v_add_f16_e32 v5, v45, v5
	v_pk_add_f16 v45, v14, v13 neg_lo:[0,1] neg_hi:[0,1]
	v_lshrrev_b32_e32 v63, 16, v41
	v_add_f16_e32 v31, v43, v31
	v_fma_f16 v46, v41, 0x3b76, -v83
	v_pk_add_f16 v43, v10, v17
	v_mul_f16_e32 v78, 0xb964, v57
	v_mul_f16_e32 v84, 0xb1e1, v57
	v_lshrrev_b32_e32 v60, 16, v45
	v_pk_add_f16 v48, v15, v12 neg_lo:[0,1] neg_hi:[0,1]
	v_mul_f16_e32 v79, 0x2de8, v63
	v_add_f16_e32 v29, v46, v29
	v_fma_f16 v47, v43, 0x39e9, -v78
	v_fma_f16 v81, v43, 0xbbdd, -v84
	v_pk_add_f16 v46, v13, v14
	v_mul_f16_e32 v80, 0xb1e1, v60
	v_mul_f16_e32 v87, 0x3964, v60
	v_lshrrev_b32_e32 v61, 16, v48
	v_fmamk_f16 v67, v42, 0x3bf7, v79
	v_add_f16_e32 v5, v47, v5
	v_add_f16_e32 v29, v81, v29
	v_fma_f16 v90, v46, 0xbbdd, -v80
	v_fma_f16 v91, v46, 0x39e9, -v87
	v_pk_add_f16 v47, v12, v15
	v_mul_f16_e32 v81, 0x3b29, v61
	v_pk_mul_f16 v92, 0x3b76b8d2, v41
	v_add_f16_e32 v27, v67, v27
	v_add_f16_e32 v5, v90, v5
	;; [unrolled: 1-line block ×3, first 2 shown]
	v_fma_f16 v90, v47, 0x3722, -v81
	v_lshrrev_b32_e32 v67, 16, v43
	v_pk_fma_f16 v91, 0xba62b5c8, v42, v92 op_sel:[0,0,1] op_sel_hi:[1,1,0]
	v_pk_mul_f16 v96, 0xbbddbacd, v51
	v_mul_f16_e32 v95, 0xb8d2, v63
	v_add_f16_e32 v5, v90, v5
	v_mul_f16_e32 v90, 0x39e9, v67
	v_pk_add_f16 v30, v91, v30
	v_mul_f16_e32 v91, 0xb1e1, v40
	v_bfi_b32 v4, 0xffff, v4, v96
	v_pk_mul_f16 v98, 0x35c83b29, v34
	v_fmamk_f16 v97, v44, 0xb964, v90
	v_mul_f16_e32 v99, 0x35c8, v34
	v_pack_b32_f16 v91, v91, v82
	v_fmamk_f16 v94, v42, 0xba62, v95
	v_pack_b32_f16 v69, v69, v85
	v_add_f16_e32 v27, v97, v27
	v_bfi_b32 v97, 0xffff, v99, v98
	v_pk_add_f16 v4, v4, v91 neg_lo:[0,1] neg_hi:[0,1]
	v_pk_mul_f16 v100, 0xb836bbf7, v36
	v_mul_f16_e32 v99, 0xb836, v36
	v_add_f16_e32 v31, v94, v31
	v_pk_mul_f16 v94, 0xbbdd3722, v43
	v_pk_add_f16 v69, v69, v97 neg_lo:[0,1] neg_hi:[0,1]
	v_pk_add_f16 v4, v28, v4 op_sel:[1,0] op_sel_hi:[0,1]
	v_pack_b32_f16 v70, v70, v86
	v_mul_f16_e32 v97, 0x3722, v67
	v_bfi_b32 v99, 0xffff, v99, v100
	v_pk_fma_f16 v91, 0x3b29b1e1, v44, v94 op_sel:[0,0,1] op_sel_hi:[1,1,0]
	v_pk_add_f16 v4, v69, v4
	v_lshrrev_b32_e32 v69, 16, v46
	v_fmamk_f16 v102, v44, 0x3b29, v97
	v_pk_add_f16 v70, v70, v99 neg_lo:[0,1] neg_hi:[0,1]
	v_pk_mul_f16 v101, 0x39643a62, v39
	v_mul_f16_e32 v99, 0x3964, v39
	v_pk_add_f16 v30, v91, v30
	v_mul_f16_e32 v91, 0xbbdd, v69
	v_add_f16_e32 v31, v102, v31
	v_pk_add_f16 v4, v70, v4
	v_pack_b32_f16 v70, v93, v89
	v_bfi_b32 v93, 0xffff, v99, v101
	v_pk_mul_f16 v102, 0xba62b5c8, v42
	v_mul_f16_e32 v104, 0xba62, v42
	v_fmamk_f16 v103, v45, 0xb1e1, v91
	v_pk_mul_f16 v99, 0x39e9b461, v46
	v_pk_add_f16 v70, v70, v93 neg_lo:[0,1] neg_hi:[0,1]
	v_pack_b32_f16 v93, v95, v92
	v_bfi_b32 v95, 0xffff, v104, v102
	v_add_f16_e32 v27, v103, v27
	v_pk_fma_f16 v104, 0xbbb23964, v45, v99 op_sel:[0,0,1] op_sel_hi:[1,1,0]
	v_pk_mul_f16 v103, 0x3b29b1e1, v44
	v_mul_f16_e32 v106, 0x3b29, v44
	v_pk_add_f16 v4, v70, v4
	v_pk_add_f16 v70, v93, v95 neg_lo:[0,1] neg_hi:[0,1]
	v_pk_add_f16 v30, v104, v30
	v_pack_b32_f16 v93, v97, v94
	v_bfi_b32 v95, 0xffff, v106, v103
	v_mul_f16_e32 v104, 0xb461, v69
	v_pk_add_f16 v4, v70, v4
	v_pk_mul_f16 v97, 0xbbb23964, v45
	v_mul_f16_e32 v106, 0xbbb2, v45
	v_lshrrev_b32_e32 v70, 16, v47
	v_pk_add_f16 v93, v93, v95 neg_lo:[0,1] neg_hi:[0,1]
	v_fmamk_f16 v107, v45, 0xbbb2, v104
	v_pack_b32_f16 v108, v104, v99
	v_bfi_b32 v106, 0xffff, v106, v97
	v_pk_mul_f16 v95, 0x3bf7bbb2, v48
	v_mul_f16_e32 v109, 0x3bf7, v48
	v_pk_mul_f16 v104, 0xb4612de8, v47
	v_mul_f16_e32 v110, 0x2de8, v70
	v_mul_f16_e32 v88, 0xbbb2, v61
	v_pk_add_f16 v4, v93, v4
	v_mul_f16_e32 v93, 0x3722, v70
	v_pk_add_f16 v106, v108, v106 neg_lo:[0,1] neg_hi:[0,1]
	v_bfi_b32 v108, 0xffff, v109, v95
	v_pack_b32_f16 v109, v110, v104
	v_fma_f16 v105, v47, 0xb461, -v88
	v_add_f16_e32 v31, v107, v31
	v_fmamk_f16 v107, v48, 0x3b29, v93
	v_pk_add_f16 v106, v106, v4
	v_pk_fma_f16 v111, 0x3bf7bbb2, v48, v104 op_sel:[0,0,1] op_sel_hi:[1,1,0]
	v_pk_add_f16 v108, v109, v108 neg_lo:[0,1] neg_hi:[0,1]
	v_fmac_f16_e32 v110, 0x3bf7, v48
	v_add_f16_e32 v4, v105, v29
	v_add_f16_e32 v29, v107, v27
	v_pk_add_f16 v30, v111, v30
	v_pk_add_f16 v27, v108, v106
	v_add_f16_e32 v31, v110, v31
	v_cmpx_gt_u32_e32 40, v0
	s_cbranch_execz .LBB0_12
; %bb.11:
	v_alignbit_b32 v82, v82, v82, 16
	v_alignbit_b32 v105, v28, v28, 16
	v_mul_f16_e32 v107, 0xba62, v40
	v_mul_f16_e32 v108, 0xbacd, v37
	v_alignbit_b32 v85, v85, v85, 16
	v_sub_f16_e32 v82, v96, v82
	v_mul_f16_e32 v110, 0x3bb2, v34
	v_mul_f16_e32 v111, 0x3722, v33
	v_alignbit_b32 v86, v86, v86, 16
	v_sub_f16_e32 v85, v85, v98
	v_add_f16_e32 v82, v105, v82
	v_add_f16_e32 v74, v108, v74
	v_sub_f16_e32 v65, v65, v107
	v_mul_f16_e32 v96, 0xb5c8, v36
	v_mul_f16_e32 v113, 0x2de8, v35
	v_alignbit_b32 v89, v89, v89, 16
	v_add_f16_e32 v82, v85, v82
	v_sub_f16_e32 v86, v86, v100
	v_add_f16_e32 v75, v111, v75
	v_add_f16_e32 v74, v28, v74
	;; [unrolled: 1-line block ×3, first 2 shown]
	v_sub_f16_e32 v66, v66, v110
	v_mul_f16_e32 v106, 0xb8d2, v37
	v_mul_f16_e32 v105, 0xb836, v39
	;; [unrolled: 1-line block ×3, first 2 shown]
	v_alignbit_b32 v92, v92, v92, 16
	v_add_f16_e32 v82, v86, v82
	v_sub_f16_e32 v89, v89, v101
	v_add_f16_e32 v74, v75, v74
	v_add_f16_e32 v77, v113, v77
	;; [unrolled: 1-line block ×3, first 2 shown]
	v_sub_f16_e32 v66, v68, v96
	v_mul_f16_e32 v109, 0xb461, v33
	v_mul_f16_e32 v100, 0x3bf7, v42
	;; [unrolled: 1-line block ×3, first 2 shown]
	v_alignbit_b32 v94, v94, v94, 16
	v_add_f16_e32 v82, v89, v82
	v_sub_f16_e32 v92, v92, v102
	v_add_f16_e32 v74, v77, v74
	v_add_f16_e32 v76, v114, v76
	;; [unrolled: 1-line block ×4, first 2 shown]
	v_sub_f16_e32 v66, v72, v105
	v_mul_f16_e32 v112, 0x3b76, v35
	v_mul_f16_e32 v101, 0xb964, v44
	v_mul_f16_e32 v111, 0xbbdd, v43
	v_alignbit_b32 v99, v99, v99, 16
	v_add_f16_e32 v82, v92, v82
	v_sub_f16_e32 v92, v94, v103
	v_add_f16_e32 v74, v76, v74
	v_add_f16_e32 v76, v108, v83
	;; [unrolled: 1-line block ×5, first 2 shown]
	v_sub_f16_e32 v66, v79, v100
	v_mul_f16_e32 v98, 0xbacd, v38
	v_mul_f16_e32 v102, 0xb1e1, v45
	;; [unrolled: 1-line block ×3, first 2 shown]
	v_add_f16_e32 v77, v92, v82
	v_sub_f16_e32 v82, v99, v97
	v_alignbit_b32 v83, v104, v104, 16
	v_add_f16_e32 v74, v76, v74
	v_add_f16_e32 v76, v111, v84
	;; [unrolled: 1-line block ×5, first 2 shown]
	v_sub_f16_e32 v66, v90, v101
	v_mul_f16_e32 v85, 0x2de8, v41
	v_mul_f16_e32 v94, 0xb461, v47
	v_add_f16_e32 v68, v82, v77
	v_sub_f16_e32 v72, v83, v95
	v_add_f16_e32 v74, v76, v74
	v_add_f16_e32 v75, v75, v87
	;; [unrolled: 1-line block ×5, first 2 shown]
	v_sub_f16_e32 v66, v91, v102
	v_mul_f16_e32 v91, 0xb461, v51
	v_mul_f16_e32 v86, 0x39e9, v43
	;; [unrolled: 1-line block ×3, first 2 shown]
	v_add_f16_e32 v59, v72, v68
	v_add_f16_e32 v68, v75, v74
	v_add_f16_e32 v71, v94, v88
	v_add_f16_e32 v64, v64, v62
	v_add_f16_e32 v72, v85, v73
	v_add_f16_e32 v65, v66, v65
	v_fmamk_f16 v66, v40, 0x3bb2, v91
	v_mul_f16_e32 v92, 0xbacd, v54
	v_mul_f16_e32 v89, 0xbbdd, v46
	v_add_f16_e32 v62, v71, v68
	v_add_f16_e32 v64, v72, v64
	;; [unrolled: 1-line block ×3, first 2 shown]
	v_sub_f16_e32 v71, v93, v115
	v_add_f16_e32 v66, v32, v66
	v_fmamk_f16 v72, v34, 0xb836, v92
	v_mul_f16_e32 v93, 0x39e9, v56
	v_mul_f16_e32 v113, 0x3722, v47
	v_add_f16_e32 v68, v68, v64
	v_add_f16_e32 v73, v89, v80
	;; [unrolled: 1-line block ×4, first 2 shown]
	v_fmamk_f16 v66, v36, 0xb964, v93
	v_mul_f16_e32 v80, 0x3722, v58
	v_add_f16_e32 v68, v73, v68
	v_add_f16_e32 v71, v113, v81
	v_mul_f16_e32 v98, 0xbbb2, v49
	v_add_f16_e32 v66, v66, v65
	v_fmamk_f16 v72, v39, 0x3b29, v80
	v_mul_f16_e32 v95, 0xbbdd, v63
	v_add_f16_e32 v65, v71, v68
	v_fmamk_f16 v68, v37, 0xb461, v98
	;; [unrolled: 3-line block ×29, first 2 shown]
	v_mul_f16_e32 v90, 0x3a62, v60
	v_add_f16_e32 v108, v108, v78
	v_mul_f16_e32 v78, 0xb461, v58
	v_pk_add_f16 v20, v28, v20
	v_add_f16_e32 v109, v110, v109
	v_fmamk_f16 v110, v36, 0xb1e1, v86
	v_mul_f16_e32 v112, 0xbb29, v49
	v_fmamk_f16 v111, v46, 0xb8d2, v90
	v_mul_f16_e32 v84, 0x3964, v61
	v_mul_f16_e32 v113, 0x39e9, v63
	v_add_f16_e32 v109, v110, v109
	v_fmamk_f16 v110, v39, 0xbbb2, v78
	v_pk_add_f16 v21, v20, v21
	v_fmamk_f16 v20, v37, 0x3722, v112
	v_mul_f16_e32 v114, 0xba62, v52
	v_add_f16_e32 v108, v111, v108
	v_fmamk_f16 v111, v47, 0x39e9, v84
	v_add_f16_e32 v109, v110, v109
	v_fmamk_f16 v110, v42, 0xb964, v113
	v_mul_f16_e32 v115, 0x3b76, v67
	v_add_f16_e32 v116, v28, v20
	v_fmamk_f16 v117, v33, 0xb8d2, v114
	v_add_f16_e32 v20, v111, v108
	v_mul_f16_e32 v108, 0x31e1, v50
	v_add_f16_e32 v109, v110, v109
	v_fmamk_f16 v110, v44, 0x35c8, v115
	v_add_f16_e32 v111, v117, v116
	v_mul_f16_e32 v116, 0x2de8, v69
	v_fmamk_f16 v117, v35, 0xbbdd, v108
	v_mul_f16_e32 v118, 0x3bb2, v53
	v_pk_add_f16 v18, v21, v18
	v_add_f16_e32 v21, v110, v109
	v_fmamk_f16 v109, v45, 0x3bf7, v116
	v_add_f16_e32 v110, v117, v111
	v_fmamk_f16 v111, v38, 0xb461, v118
	v_mul_f16_e32 v117, 0x39e9, v51
	v_pk_add_f16 v18, v18, v19
	v_add_f16_e32 v19, v109, v21
	v_mul_f16_e32 v21, 0x3964, v55
	v_add_f16_e32 v109, v111, v110
	v_fmamk_f16 v110, v40, 0x3964, v117
	v_mul_f16_e32 v111, 0x2de8, v54
	v_mul_f16_e32 v121, 0xb5c8, v57
	v_fmamk_f16 v120, v41, 0x39e9, v21
	v_mul_f16_e32 v123, 0xb8d2, v56
	v_add_f16_e32 v110, v32, v110
	v_fmamk_f16 v122, v34, 0x3bf7, v111
	v_mul_f16_e32 v124, 0xbbf7, v60
	v_add_f16_e32 v109, v120, v109
	;; [unrolled: 3-line block ×4, first 2 shown]
	v_fmamk_f16 v120, v46, 0x2de8, v124
	v_fmamk_f16 v126, v48, 0x3836, v119
	v_add_f16_e32 v110, v122, v110
	v_fmamk_f16 v122, v39, 0x31e1, v125
	v_mul_f16_e32 v127, 0xbacd, v63
	v_add_f16_e32 v109, v120, v109
	v_mul_f16_e32 v120, 0xb964, v49
	v_add_f16_e32 v19, v126, v19
	v_add_f16_e32 v110, v122, v110
	v_fmamk_f16 v122, v42, 0xb836, v127
	v_mul_f16_e32 v126, 0xb461, v67
	v_fma_f16 v129, 0x39e9, v37, v120
	v_mul_f16_e64 v130, 0xbbf7, v52
	v_mul_f16_e64 v131, 0x3722, v69
	v_add_f16_e32 v110, v122, v110
	v_fmamk_f16 v122, v44, 0xbbb2, v126
	v_add_f16_e64 v129, v28, v129
	v_fma_f16 v132, 0x2de8, v33, v130
	v_mul_f16_e64 v133, 0xba62, v50
	v_mul_f16_e64 v135, 0xb1e1, v53
	v_add_f16_e32 v110, v122, v110
	v_fma_f16 v122, 0xbb29, v45, v131
	v_add_f16_e64 v129, v132, v129
	v_fma_f16 v132, 0xb8d2, v35, v133
	v_mul_f16_e32 v51, 0x3b76, v51
	v_mul_f16_e64 v128, 0xb836, v61
	v_add_f16_e32 v110, v122, v110
	v_mul_f16_e32 v54, 0x39e9, v54
	v_add_f16_e64 v122, v132, v129
	v_fma_f16 v129, 0xbbdd, v38, v135
	v_mul_f16_e64 v132, 0x3836, v55
	v_fma_f16 v136, 0x35c8, v40, v51
	v_fma_f16 v134, 0xbacd, v47, v128
	v_mul_f16_e64 v137, 0x3bb2, v57
	v_add_f16_e64 v122, v129, v122
	v_fma_f16 v129, 0xbacd, v41, v132
	v_add_f16_e64 v136, v32, v136
	v_fma_f16 v138, 0x3964, v34, v54
	v_mul_f16_e32 v56, 0x3722, v56
	v_add_f16_e64 v109, v134, v109
	v_mul_f16_e64 v134, 0x3b76, v70
	v_add_f16_e64 v122, v129, v122
	v_fma_f16 v129, 0xb461, v43, v137
	v_mul_f16_e64 v139, 0x3b29, v60
	v_add_f16_e64 v136, v138, v136
	v_fma_f16 v138, 0x3b29, v36, v56
	v_mul_f16_e32 v58, 0x2de8, v58
	v_fma_f16 v140, 0xb5c8, v48, v134
	v_add_f16_e64 v122, v129, v122
	v_fma_f16 v129, 0x3722, v46, v139
	v_add_f16_e64 v136, v138, v136
	v_fma_f16 v138, 0x3bf7, v39, v58
	v_mul_f16_e32 v63, 0xb461, v63
	v_mul_f16_e32 v49, 0xb5c8, v49
	v_add_f16_e64 v110, v140, v110
	v_add_f16_e64 v122, v129, v122
	;; [unrolled: 1-line block ×3, first 2 shown]
	v_fma_f16 v136, 0x3bb2, v42, v63
	v_mul_f16_e32 v67, 0xb8d2, v67
	v_fma_f16 v140, 0x3b76, v37, v49
	v_mul_f16_e32 v52, 0xb964, v52
	v_mul_f16_e32 v69, 0xbacd, v69
	v_add_f16_e64 v129, v136, v129
	v_fma_f16 v136, 0x3a62, v44, v67
	v_add_f16_e64 v140, v28, v140
	v_fma_f16 v141, 0x39e9, v33, v52
	v_mul_f16_e32 v50, 0xbb29, v50
	v_mul_f16_e32 v53, 0xbbf7, v53
	v_add_f16_e64 v129, v136, v129
	v_fma_f16 v136, 0x3836, v45, v69
	v_add_f16_e64 v140, v141, v140
	v_fma_f16 v141, 0x3722, v35, v50
	v_fmac_f16_e32 v91, 0xbbb2, v40
	v_mul_f16_e32 v55, 0xbbb2, v55
	v_add_f16_e64 v129, v136, v129
	v_fmac_f16_e32 v92, 0x3836, v34
	v_add_f16_e64 v136, v141, v140
	v_fma_f16 v140, 0x2de8, v38, v53
	v_add_f16_e32 v91, v32, v91
	v_mul_f16_e32 v57, 0xba62, v57
	v_fmac_f16_e32 v93, 0x3964, v36
	v_mul_f16_e32 v60, 0xb836, v60
	v_add_f16_e64 v136, v140, v136
	v_fma_f16 v140, 0xb461, v41, v55
	v_add_f16_e32 v91, v92, v91
	v_fmac_f16_e32 v80, 0xbb29, v39
	v_fma_f16 v98, v37, 0xb461, -v98
	v_fmac_f16_e32 v95, 0xb1e1, v42
	v_add_f16_e64 v92, v140, v136
	v_fma_f16 v136, 0xb8d2, v43, v57
	v_add_f16_e32 v91, v93, v91
	v_fmamk_f16 v93, v46, 0xbacd, v60
	v_fmac_f16_e32 v82, 0x3bf7, v44
	v_fmac_f16_e32 v102, 0xbbf7, v40
	v_add_f16_e64 v92, v136, v92
	v_add_f16_e32 v80, v80, v91
	v_fma_f16 v87, v35, 0x39e9, -v87
	v_fmac_f16_e32 v94, 0xb1e1, v34
	v_fma_f16 v88, v38, 0x3722, -v88
	v_add_f16_e32 v91, v93, v92
	v_add_f16_e32 v92, v28, v98
	v_fma_f16 v93, v33, 0xbacd, -v99
	v_add_f16_e32 v80, v95, v80
	v_fmac_f16_e32 v96, 0x3bb2, v36
	v_fma_f16 v77, v41, 0xbbdd, -v77
	v_fmac_f16_e32 v97, 0x35c8, v39
	v_add_f16_e32 v92, v93, v92
	v_add_f16_e32 v80, v82, v80
	;; [unrolled: 1-line block ×3, first 2 shown]
	v_fma_f16 v79, v43, 0x2de8, -v79
	v_fmac_f16_e32 v73, 0xb5c8, v45
	v_add_f16_e32 v87, v87, v92
	v_fma_f16 v92, v37, 0x2de8, -v105
	v_add_f16_e32 v82, v94, v82
	v_fmac_f16_e32 v100, 0xbb29, v42
	v_fmac_f16_e32 v89, 0xb836, v44
	v_add_f16_e32 v87, v88, v87
	v_add_f16_e32 v88, v28, v92
	v_fma_f16 v92, v33, 0xbbdd, -v106
	v_add_f16_e32 v82, v96, v82
	v_add_f16_e32 v73, v73, v80
	;; [unrolled: 1-line block ×3, first 2 shown]
	v_fma_f16 v80, v41, 0x3722, -v101
	v_add_f16_e32 v87, v92, v88
	v_fma_f16 v88, v35, 0xb461, -v107
	v_add_f16_e32 v82, v97, v82
	v_add_f16_e32 v77, v79, v77
	v_fma_f16 v79, v46, 0x3b76, -v81
	v_fmac_f16_e32 v72, 0xba62, v48
	v_add_f16_e32 v81, v88, v87
	v_fma_f16 v87, v38, 0x3b76, -v104
	v_add_f16_e32 v82, v100, v82
	v_add_f16_e32 v77, v79, v77
	v_fma_f16 v74, v47, 0xb8d2, -v74
	v_fmac_f16_e32 v83, 0xbb29, v40
	v_add_f16_e32 v79, v87, v81
	v_add_f16_e32 v81, v89, v82
	v_fmac_f16_e32 v76, 0x3a62, v45
	v_add_f16_e32 v72, v72, v73
	v_add_f16_e32 v73, v74, v77
	;; [unrolled: 1-line block ×3, first 2 shown]
	v_fma_f16 v80, v43, 0xbacd, -v103
	v_add_f16_e32 v77, v32, v83
	v_fmac_f16_e32 v85, 0xba62, v34
	v_pk_add_f16 v16, v18, v16
	v_fma_f16 v18, v37, 0x3722, -v112
	v_add_f16_e32 v74, v76, v81
	v_add_f16_e32 v76, v80, v79
	v_fmac_f16_e32 v75, 0x3964, v48
	v_fma_f16 v79, v46, 0xb8d2, -v90
	v_add_f16_e32 v77, v85, v77
	v_fmac_f16_e32 v86, 0x31e1, v36
	v_add_f16_e32 v18, v28, v18
	v_fma_f16 v80, v33, 0xb8d2, -v114
	v_add_f16_e32 v74, v75, v74
	v_add_f16_e32 v75, v79, v76
	;; [unrolled: 1-line block ×3, first 2 shown]
	v_fmac_f16_e32 v78, 0x3bb2, v39
	v_add_f16_e32 v18, v80, v18
	v_fma_f16 v77, v35, 0xbbdd, -v108
	v_fmac_f16_e32 v117, 0xb964, v40
	v_pk_add_f16 v16, v16, v17
	v_add_f16_e32 v76, v78, v76
	v_fmac_f16_e32 v111, 0xbbf7, v34
	v_add_f16_e32 v18, v77, v18
	v_fma_f16 v77, v38, 0xb461, -v118
	v_add_f16_e32 v78, v32, v117
	v_pk_add_f16 v14, v16, v14
	v_fma_f16 v21, v41, 0x39e9, -v21
	v_fmac_f16_e32 v123, 0xba62, v36
	v_add_f16_e32 v18, v77, v18
	v_add_f16_e32 v77, v111, v78
	v_fmac_f16_e32 v51, 0xb5c8, v40
	v_pk_add_f16 v14, v14, v15
	v_fma_f16 v79, v47, 0x39e9, -v84
	v_add_f16_e32 v18, v21, v18
	v_fma_f16 v21, v43, 0x3b76, -v121
	v_add_f16_e32 v77, v123, v77
	v_fmac_f16_e32 v125, 0xb1e1, v39
	v_fma_f16 v78, v37, 0x39e9, -v120
	v_add_f16_e32 v17, v32, v51
	v_fma_f16 v32, v37, 0x3b76, -v49
	v_fmac_f16_e32 v54, 0xb964, v34
	v_pk_add_f16 v12, v14, v12
	v_add_f16_e32 v75, v79, v75
	v_add_f16_e32 v18, v21, v18
	;; [unrolled: 1-line block ×3, first 2 shown]
	v_fma_f16 v77, v46, 0x2de8, -v124
	v_add_f16_e32 v78, v28, v78
	v_fma_f16 v79, v33, 0x2de8, -v130
	v_add_f16_e32 v28, v28, v32
	;; [unrolled: 2-line block ×3, first 2 shown]
	v_fmac_f16_e32 v56, 0xbb29, v36
	v_pk_add_f16 v12, v12, v13
	v_add_f16_e32 v18, v77, v18
	v_add_f16_e32 v77, v79, v78
	v_fma_f16 v78, v35, 0xb8d2, -v133
	v_add_f16_e32 v14, v15, v28
	v_fma_f16 v15, v35, 0x3722, -v50
	v_add_f16_e32 v17, v56, v17
	v_fmac_f16_e32 v58, 0xbbf7, v39
	v_pk_add_f16 v10, v12, v10
	v_add_f16_e32 v77, v78, v77
	v_fma_f16 v78, v38, 0xbbdd, -v135
	v_add_f16_e32 v13, v15, v14
	v_fma_f16 v14, v38, 0x2de8, -v53
	v_add_f16_e32 v17, v58, v17
	v_fmac_f16_e32 v63, 0xbbb2, v42
	v_pk_add_f16 v10, v10, v11
	v_add_f16_e32 v40, v78, v77
	v_fma_f16 v77, v41, 0xbacd, -v132
	v_fmac_f16_e32 v113, 0x3964, v42
	v_fmac_f16_e32 v127, 0x3836, v42
	v_add_f16_e32 v13, v14, v13
	v_fma_f16 v14, v41, 0xb461, -v55
	v_mul_f16_e64 v138, 0x35c8, v61
	v_mul_f16_e32 v70, 0xbbdd, v70
	v_mul_f16_e32 v61, 0xb1e1, v61
	v_add_f16_e32 v12, v63, v17
	v_fmac_f16_e32 v67, 0xba62, v44
	v_pk_add_f16 v8, v10, v8
	v_add_f16_e32 v16, v77, v40
	v_fma_f16 v32, v43, 0xb461, -v137
	v_add_f16_e32 v76, v113, v76
	v_fmac_f16_e32 v115, 0xb5c8, v44
	v_add_f16_e32 v21, v127, v21
	v_fmac_f16_e32 v126, 0x3bb2, v44
	v_add_f16_e32 v13, v14, v13
	v_fma_f16 v10, v43, 0xb8d2, -v57
	v_fma_f16 v141, 0x31e1, v48, v70
	v_fmamk_f16 v98, v47, 0xbbdd, v61
	v_add_f16_e32 v12, v67, v12
	v_fmac_f16_e32 v69, 0xb836, v45
	v_pk_add_f16 v8, v8, v9
	v_fma_f16 v142, 0x3b76, v47, v138
	v_add_f16_e32 v16, v32, v16
	v_fma_f16 v15, v46, 0x3722, -v139
	v_add_f16_e32 v76, v115, v76
	v_fmac_f16_e32 v116, 0xbbf7, v45
	v_add_f16_e32 v21, v126, v21
	v_fmac_f16_e64 v131, 0x3b29, v45
	v_add_f16_e32 v9, v10, v13
	v_fma_f16 v10, v46, 0xbacd, -v60
	v_add_f16_e64 v129, v141, v129
	v_add_f16_e32 v91, v98, v91
	v_add_f16_e32 v12, v69, v12
	v_fmac_f16_e32 v70, 0xb1e1, v48
	v_mul_u32_u24_e32 v13, 0x44, v0
	v_pk_add_f16 v6, v8, v6
	v_add_f16_e64 v122, v142, v122
	v_add_f16_e32 v11, v15, v16
	v_fma_f16 v14, v47, 0x3b76, -v138
	v_add_f16_e32 v76, v116, v76
	v_fmac_f16_e32 v119, 0xb836, v48
	v_fma_f16 v79, v47, 0xbacd, -v128
	v_add_f16_e64 v21, v131, v21
	v_fmac_f16_e64 v134, 0x35c8, v48
	v_add_f16_e32 v9, v10, v9
	v_fma_f16 v10, v47, 0xbbdd, -v61
	v_add_f16_e32 v8, v70, v12
	v_add3_u32 v12, 0, v13, v25
	v_pk_add_f16 v6, v6, v7
	v_pack_b32_f16 v7, v91, v129
	v_add_f16_e32 v11, v14, v11
	v_pack_b32_f16 v13, v109, v19
	v_pack_b32_f16 v14, v122, v110
	;; [unrolled: 1-line block ×4, first 2 shown]
	v_add_f16_e32 v76, v119, v76
	v_add_f16_e32 v18, v79, v18
	v_add_f16_e64 v21, v134, v21
	v_pack_b32_f16 v17, v65, v64
	v_pack_b32_f16 v19, v62, v59
	v_add_f16_e32 v9, v10, v9
	ds_store_2addr_b32 v12, v6, v7 offset1:1
	ds_store_2addr_b32 v12, v14, v13 offset0:2 offset1:3
	ds_store_2addr_b32 v12, v16, v15 offset0:4 offset1:5
	;; [unrolled: 1-line block ×3, first 2 shown]
	v_alignbit_b32 v6, v31, v27, 16
	v_alignbit_b32 v7, v27, v30, 16
	v_perm_b32 v10, v29, v5, 0x5040100
	v_perm_b32 v13, v30, v4, 0x5040100
	v_pack_b32_f16 v14, v75, v74
	v_pack_b32_f16 v15, v73, v72
	;; [unrolled: 1-line block ×5, first 2 shown]
	ds_store_2addr_b32 v12, v7, v6 offset0:8 offset1:9
	ds_store_2addr_b32 v12, v13, v10 offset0:10 offset1:11
	;; [unrolled: 1-line block ×4, first 2 shown]
	ds_store_b32 v12, v8 offset:64
.LBB0_12:
	s_wait_alu 0xfffe
	s_or_b32 exec_lo, exec_lo, s1
	v_add_nc_u32_e32 v6, 0x200, v24
	global_wb scope:SCOPE_SE
	s_wait_dscnt 0x0
	s_barrier_signal -1
	s_barrier_wait -1
	global_inv scope:SCOPE_SE
	ds_load_2addr_b32 v[8:9], v24 offset0:68 offset1:170
	ds_load_2addr_b32 v[12:13], v6 offset0:110 offset1:212
	;; [unrolled: 1-line block ×3, first 2 shown]
	ds_load_b32 v14, v22
	ds_load_b32 v15, v24 offset:2312
	v_cmp_gt_u32_e64 s0, 34, v0
	v_lshrrev_b32_e32 v7, 16, v27
	s_delay_alu instid0(VALU_DEP_2)
	s_and_saveexec_b32 s1, s0
	s_cbranch_execz .LBB0_14
; %bb.13:
	v_add_nc_u32_e32 v4, 0x700, v24
	ds_load_2addr_b32 v[6:7], v6 offset0:8 offset1:178
	ds_load_2addr_b32 v[4:5], v4 offset0:28 offset1:198
	ds_load_u16 v16, v24 offset:1906
	s_wait_dscnt 0x2
	v_lshrrev_b32_e32 v27, 16, v6
	v_lshrrev_b32_e32 v31, 16, v7
	s_wait_dscnt 0x1
	v_lshrrev_b32_e32 v29, 16, v5
	s_wait_dscnt 0x0
	v_perm_b32 v30, v6, v16, 0x5040100
.LBB0_14:
	s_wait_alu 0xfffe
	s_or_b32 exec_lo, exec_lo, s1
	v_and_b32_e32 v6, 0xff, v0
	v_add_nc_u16 v16, v0, 0x44
	s_wait_dscnt 0x4
	v_lshrrev_b32_e32 v35, 16, v9
	s_wait_dscnt 0x3
	v_lshrrev_b32_e32 v36, 16, v13
	s_wait_dscnt 0x2
	v_lshrrev_b32_e32 v37, 16, v11
	v_mul_lo_u16 v6, 0xf1, v6
	v_and_b32_e32 v17, 0xff, v16
	v_lshrrev_b32_e32 v38, 16, v12
	v_lshrrev_b32_e32 v39, 16, v10
	s_wait_dscnt 0x0
	v_lshrrev_b32_e32 v40, 16, v15
	v_lshrrev_b16 v6, 12, v6
	v_mul_lo_u16 v17, 0xf1, v17
	v_lshrrev_b32_e32 v33, 16, v14
	v_lshrrev_b32_e32 v34, 16, v8
	s_delay_alu instid0(VALU_DEP_4) | instskip(NEXT) | instid1(VALU_DEP_4)
	v_mul_lo_u16 v18, v6, 17
	v_lshrrev_b16 v26, 12, v17
	v_and_b32_e32 v6, 0xffff, v6
	s_delay_alu instid0(VALU_DEP_3) | instskip(NEXT) | instid1(VALU_DEP_3)
	v_sub_nc_u16 v18, v0, v18
	v_mul_lo_u16 v17, v26, 17
	v_and_b32_e32 v26, 0xffff, v26
	s_delay_alu instid0(VALU_DEP_4) | instskip(NEXT) | instid1(VALU_DEP_4)
	v_mad_u32_u24 v6, 0x110, v6, 0
	v_and_b32_e32 v28, 0xff, v18
	s_delay_alu instid0(VALU_DEP_4) | instskip(NEXT) | instid1(VALU_DEP_4)
	v_sub_nc_u16 v16, v16, v17
	v_mad_u32_u24 v26, 0x110, v26, 0
	s_delay_alu instid0(VALU_DEP_3) | instskip(NEXT) | instid1(VALU_DEP_3)
	v_mul_u32_u24_e32 v18, 3, v28
	v_and_b32_e32 v32, 0xff, v16
	v_lshlrev_b32_e32 v28, 2, v28
	s_delay_alu instid0(VALU_DEP_3) | instskip(NEXT) | instid1(VALU_DEP_3)
	v_lshlrev_b32_e32 v17, 2, v18
	v_mul_u32_u24_e32 v19, 3, v32
	v_lshlrev_b32_e32 v32, 2, v32
	s_delay_alu instid0(VALU_DEP_4)
	v_add3_u32 v6, v6, v28, v25
	global_load_b96 v[16:18], v17, s[4:5]
	v_lshlrev_b32_e32 v19, 2, v19
	v_add3_u32 v26, v26, v32, v25
	global_load_b96 v[19:21], v19, s[4:5]
	global_wb scope:SCOPE_SE
	s_wait_loadcnt 0x0
	s_barrier_signal -1
	s_barrier_wait -1
	global_inv scope:SCOPE_SE
	v_lshrrev_b32_e32 v28, 16, v16
	v_lshrrev_b32_e32 v32, 16, v17
	;; [unrolled: 1-line block ×3, first 2 shown]
	s_delay_alu instid0(VALU_DEP_3) | instskip(SKIP_1) | instid1(VALU_DEP_4)
	v_mul_f16_e32 v42, v28, v35
	v_mul_f16_e32 v28, v28, v9
	;; [unrolled: 1-line block ×6, first 2 shown]
	v_lshrrev_b32_e32 v45, 16, v19
	v_lshrrev_b32_e32 v46, 16, v20
	;; [unrolled: 1-line block ×3, first 2 shown]
	v_fmac_f16_e32 v42, v16, v9
	v_fma_f16 v9, v16, v35, -v28
	v_fmac_f16_e32 v43, v17, v13
	v_fma_f16 v13, v17, v36, -v32
	;; [unrolled: 2-line block ×3, first 2 shown]
	v_mul_f16_e32 v16, v45, v38
	v_mul_f16_e32 v17, v45, v12
	v_mul_f16_e32 v18, v46, v39
	v_mul_f16_e32 v28, v46, v10
	v_mul_f16_e32 v32, v47, v40
	v_mul_f16_e32 v35, v47, v15
	v_fmac_f16_e32 v16, v19, v12
	v_fma_f16 v12, v19, v38, -v17
	v_fmac_f16_e32 v18, v20, v10
	v_fma_f16 v10, v20, v39, -v28
	v_fmac_f16_e32 v32, v21, v15
	v_fma_f16 v19, v21, v40, -v35
	v_sub_f16_e32 v15, v14, v43
	v_sub_f16_e32 v13, v33, v13
	;; [unrolled: 1-line block ×8, first 2 shown]
	v_fma_f16 v14, v14, 2.0, -v15
	v_fma_f16 v20, v33, 2.0, -v13
	;; [unrolled: 1-line block ×4, first 2 shown]
	v_add_f16_e32 v11, v15, v11
	v_sub_f16_e32 v17, v13, v17
	v_fma_f16 v8, v8, 2.0, -v18
	v_fma_f16 v32, v34, 2.0, -v10
	;; [unrolled: 1-line block ×4, first 2 shown]
	v_sub_f16_e32 v21, v14, v21
	v_sub_f16_e32 v9, v20, v9
	v_fma_f16 v15, v15, 2.0, -v11
	v_fma_f16 v13, v13, 2.0, -v17
	v_add_f16_e32 v19, v18, v19
	v_sub_f16_e32 v28, v10, v28
	v_sub_f16_e32 v16, v8, v16
	;; [unrolled: 1-line block ×3, first 2 shown]
	v_pack_b32_f16 v11, v11, v17
	v_fma_f16 v14, v14, 2.0, -v21
	v_fma_f16 v17, v20, 2.0, -v9
	;; [unrolled: 1-line block ×4, first 2 shown]
	v_pack_b32_f16 v13, v15, v13
	v_fma_f16 v8, v8, 2.0, -v16
	v_fma_f16 v15, v32, 2.0, -v12
	v_pack_b32_f16 v9, v21, v9
	v_pack_b32_f16 v14, v14, v17
	;; [unrolled: 1-line block ×6, first 2 shown]
	ds_store_2addr_b32 v6, v9, v11 offset0:34 offset1:51
	ds_store_2addr_b32 v6, v14, v13 offset1:17
	ds_store_2addr_b32 v26, v8, v10 offset1:17
	ds_store_2addr_b32 v26, v12, v19 offset0:34 offset1:51
	s_and_saveexec_b32 s1, s0
	s_cbranch_execz .LBB0_16
; %bb.15:
	v_add_nc_u16 v6, v0, 0x88
	v_lshrrev_b32_e32 v15, 16, v30
	s_delay_alu instid0(VALU_DEP_2) | instskip(NEXT) | instid1(VALU_DEP_1)
	v_and_b32_e32 v8, 0xff, v6
	v_mul_lo_u16 v8, 0xf1, v8
	s_delay_alu instid0(VALU_DEP_1) | instskip(NEXT) | instid1(VALU_DEP_1)
	v_lshrrev_b16 v11, 12, v8
	v_mul_lo_u16 v8, v11, 17
	s_delay_alu instid0(VALU_DEP_1) | instskip(NEXT) | instid1(VALU_DEP_1)
	v_sub_nc_u16 v6, v6, v8
	v_and_b32_e32 v6, 0xff, v6
	s_delay_alu instid0(VALU_DEP_1) | instskip(SKIP_1) | instid1(VALU_DEP_2)
	v_mul_u32_u24_e32 v8, 3, v6
	v_lshlrev_b32_e32 v6, 2, v6
	v_lshlrev_b32_e32 v8, 2, v8
	global_load_b96 v[8:10], v8, s[4:5]
	s_wait_loadcnt 0x0
	v_lshrrev_b32_e32 v12, 16, v9
	v_lshrrev_b32_e32 v13, 16, v8
	;; [unrolled: 1-line block ×3, first 2 shown]
	s_delay_alu instid0(VALU_DEP_3) | instskip(NEXT) | instid1(VALU_DEP_3)
	v_mul_f16_e32 v16, v30, v12
	v_mul_f16_e32 v17, v7, v13
	s_delay_alu instid0(VALU_DEP_3)
	v_mul_f16_e32 v18, v5, v14
	v_mul_f16_e32 v13, v31, v13
	;; [unrolled: 1-line block ×4, first 2 shown]
	v_fmac_f16_e32 v16, v4, v9
	v_fma_f16 v4, v31, v8, -v17
	v_fmac_f16_e32 v13, v7, v8
	v_fmac_f16_e32 v14, v5, v10
	v_fma_f16 v5, v30, v9, -v12
	v_fma_f16 v7, v29, v10, -v18
	v_sub_f16_e32 v8, v15, v16
	v_and_b32_e32 v10, 0xffff, v11
	v_sub_f16_e32 v9, v13, v14
	v_sub_f16_e32 v5, v27, v5
	;; [unrolled: 1-line block ×3, first 2 shown]
	v_fma_f16 v11, v15, 2.0, -v8
	v_mad_u32_u24 v10, 0x110, v10, 0
	v_fma_f16 v12, v13, 2.0, -v9
	v_fma_f16 v13, v27, 2.0, -v5
	;; [unrolled: 1-line block ×3, first 2 shown]
	v_add_f16_e32 v7, v8, v7
	v_sub_f16_e32 v9, v5, v9
	v_sub_f16_e32 v12, v11, v12
	v_add3_u32 v6, v10, v6, v25
	v_sub_f16_e32 v4, v13, v4
	v_fma_f16 v8, v8, 2.0, -v7
	v_fma_f16 v5, v5, 2.0, -v9
	;; [unrolled: 1-line block ×3, first 2 shown]
	v_pack_b32_f16 v7, v7, v9
	v_fma_f16 v13, v13, 2.0, -v4
	v_pack_b32_f16 v4, v12, v4
	v_pack_b32_f16 v5, v8, v5
	s_delay_alu instid0(VALU_DEP_3)
	v_pack_b32_f16 v8, v11, v13
	ds_store_2addr_b32 v6, v8, v5 offset1:17
	ds_store_2addr_b32 v6, v4, v7 offset0:34 offset1:51
.LBB0_16:
	s_wait_alu 0xfffe
	s_or_b32 exec_lo, exec_lo, s1
	v_mul_u32_u24_e32 v4, 9, v0
	global_wb scope:SCOPE_SE
	s_wait_dscnt 0x0
	s_barrier_signal -1
	s_barrier_wait -1
	global_inv scope:SCOPE_SE
	v_lshlrev_b32_e32 v12, 2, v4
	v_add_nc_u32_e32 v21, 0x400, v24
	v_add_nc_u32_e32 v16, 0x600, v24
	;; [unrolled: 1-line block ×4, first 2 shown]
	s_clause 0x2
	global_load_b128 v[4:7], v12, s[4:5] offset:204
	global_load_b128 v[8:11], v12, s[4:5] offset:220
	global_load_b32 v20, v12, s[4:5] offset:236
	ds_load_2addr_b32 v[12:13], v24 offset0:68 offset1:136
	ds_load_b32 v25, v22
	ds_load_b32 v26, v24 offset:2448
	ds_load_2addr_b32 v[14:15], v21 offset0:84 offset1:152
	ds_load_2addr_b32 v[16:17], v16 offset0:92 offset1:160
	;; [unrolled: 1-line block ×3, first 2 shown]
	global_wb scope:SCOPE_SE
	s_wait_loadcnt_dscnt 0x0
	s_barrier_signal -1
	s_barrier_wait -1
	global_inv scope:SCOPE_SE
	s_mov_b32 s1, exec_lo
	v_lshrrev_b32_e32 v32, 16, v15
	v_lshrrev_b32_e32 v30, 16, v12
	;; [unrolled: 1-line block ×19, first 2 shown]
	v_mul_f16_e32 v47, v38, v30
	v_mul_f16_e32 v38, v38, v12
	;; [unrolled: 1-line block ×18, first 2 shown]
	v_fmac_f16_e32 v47, v4, v12
	v_fma_f16 v4, v4, v30, -v38
	v_fmac_f16_e32 v48, v5, v13
	v_fma_f16 v5, v5, v31, -v39
	v_fmac_f16_e32 v49, v6, v18
	v_fma_f16 v6, v6, v35, -v40
	v_fmac_f16_e32 v50, v7, v19
	v_fma_f16 v7, v7, v36, -v41
	v_fmac_f16_e32 v51, v8, v14
	v_fma_f16 v8, v8, v37, -v42
	v_fmac_f16_e32 v52, v15, v9
	v_fma_f16 v9, v32, v9, -v43
	v_fmac_f16_e32 v53, v16, v10
	v_fma_f16 v10, v33, v10, -v44
	v_fmac_f16_e32 v54, v17, v11
	v_fma_f16 v11, v34, v11, -v45
	v_fma_f16 v12, v29, v20, -v46
	v_fmac_f16_e32 v55, v26, v20
	v_add_f16_e32 v13, v25, v48
	v_sub_f16_e32 v17, v48, v50
	v_sub_f16_e32 v18, v54, v52
	v_add_f16_e32 v19, v48, v54
	v_sub_f16_e32 v20, v50, v48
	v_sub_f16_e32 v26, v52, v54
	;; [unrolled: 1-line block ×5, first 2 shown]
	v_add_f16_e32 v46, v4, v6
	v_add_f16_e32 v48, v8, v10
	v_add_f16_e32 v59, v6, v12
	v_add_f16_e32 v29, v28, v5
	v_add_f16_e32 v37, v47, v49
	v_add_f16_e32 v38, v51, v53
	v_sub_f16_e32 v39, v6, v12
	v_sub_f16_e32 v40, v8, v10
	;; [unrolled: 1-line block ×3, first 2 shown]
	v_add_f16_e32 v43, v49, v55
	v_sub_f16_e32 v44, v51, v49
	v_sub_f16_e32 v49, v49, v55
	;; [unrolled: 1-line block ×4, first 2 shown]
	v_add_f16_e32 v17, v17, v18
	v_add_f16_e32 v18, v20, v26
	;; [unrolled: 1-line block ×4, first 2 shown]
	v_fma_f16 v34, -0.5, v48, v4
	v_add_f16_e32 v14, v50, v52
	v_add_f16_e32 v30, v7, v9
	;; [unrolled: 1-line block ×3, first 2 shown]
	v_sub_f16_e32 v56, v51, v53
	v_fmac_f16_e32 v4, -0.5, v59
	v_sub_f16_e32 v15, v5, v11
	v_sub_f16_e32 v16, v7, v9
	;; [unrolled: 1-line block ×6, first 2 shown]
	v_add_f16_e32 v7, v29, v7
	v_fma_f16 v29, -0.5, v38, v47
	v_add_f16_e32 v8, v8, v10
	v_fmamk_f16 v10, v49, 0x3b9c, v34
	v_sub_f16_e32 v32, v50, v52
	v_add_f16_e32 v13, v13, v50
	v_fma_f16 v14, -0.5, v14, v25
	v_fmac_f16_e32 v25, -0.5, v19
	v_fma_f16 v19, -0.5, v30, v28
	v_fmac_f16_e32 v28, -0.5, v35
	v_add_f16_e32 v26, v37, v51
	v_fmac_f16_e32 v47, -0.5, v43
	v_fmamk_f16 v43, v56, 0xbb9c, v4
	v_fmac_f16_e32 v4, 0x3b9c, v56
	v_sub_f16_e32 v36, v9, v11
	v_fmac_f16_e32 v34, 0xbb9c, v49
	v_add_f16_e32 v30, v41, v42
	v_add_f16_e32 v35, v57, v58
	;; [unrolled: 1-line block ×3, first 2 shown]
	v_fmamk_f16 v41, v39, 0xbb9c, v29
	v_fmac_f16_e32 v10, 0x38b4, v56
	v_sub_f16_e32 v45, v53, v55
	v_add_f16_e32 v6, v6, v60
	v_add_f16_e32 v13, v13, v52
	v_fmamk_f16 v38, v32, 0xbb9c, v28
	v_fmac_f16_e32 v28, 0x3b9c, v32
	v_add_f16_e32 v26, v26, v53
	v_fmamk_f16 v42, v40, 0x3b9c, v47
	v_fmac_f16_e32 v47, 0xbb9c, v40
	v_fmac_f16_e32 v43, 0x38b4, v49
	;; [unrolled: 1-line block ×3, first 2 shown]
	v_add_f16_e32 v5, v5, v36
	v_fmamk_f16 v36, v15, 0xbb9c, v14
	v_fmac_f16_e32 v14, 0x3b9c, v15
	v_fmac_f16_e32 v29, 0x3b9c, v39
	;; [unrolled: 1-line block ×3, first 2 shown]
	v_fmamk_f16 v9, v31, 0x3b9c, v19
	v_add_f16_e32 v7, v7, v11
	v_fmac_f16_e32 v41, 0xb8b4, v40
	v_add_f16_e32 v8, v8, v12
	v_fmac_f16_e32 v10, 0x34f2, v35
	v_add_f16_e32 v33, v44, v45
	v_fmamk_f16 v37, v16, 0x3b9c, v25
	v_fmac_f16_e32 v25, 0xbb9c, v16
	v_add_f16_e32 v13, v13, v54
	v_fmac_f16_e32 v38, 0x38b4, v31
	v_fmac_f16_e32 v28, 0xb8b4, v31
	v_add_f16_e32 v11, v26, v55
	v_fmac_f16_e32 v42, 0xb8b4, v39
	v_fmac_f16_e32 v47, 0x38b4, v39
	;; [unrolled: 1-line block ×11, first 2 shown]
	v_add_f16_e32 v6, v7, v8
	v_sub_f16_e32 v7, v7, v8
	v_mul_f16_e32 v8, 0xb8b4, v10
	v_mul_f16_e32 v10, 0x3a79, v10
	v_fmac_f16_e32 v37, 0xb8b4, v15
	v_fmac_f16_e32 v25, 0x38b4, v15
	;; [unrolled: 1-line block ×6, first 2 shown]
	v_add_f16_e32 v5, v13, v11
	v_sub_f16_e32 v11, v13, v11
	v_mul_f16_e32 v12, 0xbb9c, v43
	v_mul_f16_e32 v13, 0xbb9c, v4
	;; [unrolled: 1-line block ×4, first 2 shown]
	v_fmac_f16_e32 v19, 0xb8b4, v32
	v_fmac_f16_e32 v36, 0x34f2, v17
	;; [unrolled: 1-line block ×4, first 2 shown]
	v_mul_f16_e32 v15, 0xb8b4, v34
	v_mul_f16_e32 v17, 0xba79, v34
	v_fmac_f16_e32 v9, 0x34f2, v20
	v_fmac_f16_e32 v8, 0x3a79, v41
	;; [unrolled: 1-line block ×12, first 2 shown]
	v_pack_b32_f16 v5, v5, v6
	v_pack_b32_f16 v6, v11, v7
	v_add_f16_e32 v7, v36, v8
	v_add_f16_e32 v26, v9, v10
	;; [unrolled: 1-line block ×8, first 2 shown]
	v_sub_f16_e32 v8, v36, v8
	v_sub_f16_e32 v12, v37, v12
	;; [unrolled: 1-line block ×8, first 2 shown]
	v_pack_b32_f16 v7, v7, v26
	v_pack_b32_f16 v11, v11, v29
	v_pack_b32_f16 v16, v18, v30
	v_pack_b32_f16 v17, v20, v31
	v_pack_b32_f16 v8, v8, v9
	v_pack_b32_f16 v9, v12, v10
	v_pack_b32_f16 v4, v13, v4
	v_pack_b32_f16 v10, v14, v15
	ds_store_2addr_b32 v24, v5, v7 offset1:68
	ds_store_2addr_b32 v24, v11, v16 offset0:136 offset1:204
	ds_store_2addr_b32 v21, v17, v6 offset0:16 offset1:84
	;; [unrolled: 1-line block ×4, first 2 shown]
	global_wb scope:SCOPE_SE
	s_wait_dscnt 0x0
	s_barrier_signal -1
	s_barrier_wait -1
	global_inv scope:SCOPE_SE
	ds_load_b32 v10, v22
	v_sub_nc_u32_e32 v6, v1, v23
                                        ; implicit-def: $vgpr8
                                        ; implicit-def: $vgpr7
                                        ; implicit-def: $vgpr9
                                        ; implicit-def: $vgpr4_vgpr5
	v_cmpx_ne_u32_e32 0, v0
	s_wait_alu 0xfffe
	s_xor_b32 s1, exec_lo, s1
	s_cbranch_execz .LBB0_18
; %bb.17:
	v_mov_b32_e32 v1, 0
	s_delay_alu instid0(VALU_DEP_1) | instskip(NEXT) | instid1(VALU_DEP_1)
	v_lshlrev_b64_e32 v[4:5], 2, v[0:1]
	v_add_co_u32 v4, s0, s4, v4
	s_wait_alu 0xf1ff
	s_delay_alu instid0(VALU_DEP_2)
	v_add_co_ci_u32_e64 v5, s0, s5, v5, s0
	global_load_b32 v4, v[4:5], off offset:2652
	ds_load_b32 v5, v6 offset:2720
	s_wait_dscnt 0x0
	v_pk_add_f16 v7, v10, v5 neg_lo:[0,1] neg_hi:[0,1]
	v_pk_add_f16 v5, v5, v10
	s_delay_alu instid0(VALU_DEP_1) | instskip(SKIP_1) | instid1(VALU_DEP_2)
	v_bfi_b32 v8, 0xffff, v7, v5
	v_bfi_b32 v5, 0xffff, v5, v7
	v_pk_mul_f16 v8, v8, 0.5 op_sel_hi:[1,0]
	s_delay_alu instid0(VALU_DEP_2) | instskip(SKIP_1) | instid1(VALU_DEP_2)
	v_pk_mul_f16 v9, v5, 0.5 op_sel_hi:[1,0]
	s_wait_loadcnt 0x0
	v_pk_mul_f16 v7, v4, v8 op_sel:[1,0]
	v_pk_mul_f16 v4, v4, v8 op_sel_hi:[0,1]
	s_delay_alu instid0(VALU_DEP_3) | instskip(NEXT) | instid1(VALU_DEP_3)
	v_lshrrev_b32_e32 v8, 16, v9
	v_pk_fma_f16 v5, v5, 0.5, v7 op_sel_hi:[1,0,1]
	v_lshrrev_b32_e32 v10, 16, v7
	v_sub_f16_e32 v7, v9, v7
	v_lshrrev_b32_e32 v9, 16, v4
	s_delay_alu instid0(VALU_DEP_4) | instskip(SKIP_2) | instid1(VALU_DEP_4)
	v_pk_add_f16 v11, v5, v4 op_sel:[0,1] op_sel_hi:[1,0]
	v_pk_add_f16 v5, v5, v4 op_sel:[0,1] op_sel_hi:[1,0] neg_lo:[0,1] neg_hi:[0,1]
	v_sub_f16_e32 v10, v10, v8
	v_sub_f16_e32 v7, v7, v9
	s_delay_alu instid0(VALU_DEP_3) | instskip(NEXT) | instid1(VALU_DEP_3)
	v_bfi_b32 v8, 0xffff, v11, v5
	v_sub_f16_e32 v9, v10, v4
	v_dual_mov_b32 v5, v1 :: v_dual_mov_b32 v4, v0
                                        ; implicit-def: $vgpr10
                                        ; implicit-def: $vgpr1
.LBB0_18:
	s_wait_alu 0xfffe
	s_and_not1_saveexec_b32 s0, s1
	s_cbranch_execz .LBB0_20
; %bb.19:
	ds_load_u16 v4, v1 offset:1362
	s_wait_dscnt 0x1
	s_wait_alu 0xfffe
	v_alignbit_b32 v5, s0, v10, 16
	v_lshrrev_b32_e32 v7, 16, v10
	v_mov_b32_e32 v9, 0
	s_delay_alu instid0(VALU_DEP_3) | instskip(NEXT) | instid1(VALU_DEP_3)
	v_pk_add_f16 v5, v5, v10
	v_sub_f16_e32 v7, v10, v7
	s_delay_alu instid0(VALU_DEP_2)
	v_pack_b32_f16 v8, v5, 0
	s_wait_dscnt 0x0
	v_xor_b32_e32 v10, 0x8000, v4
	v_mov_b32_e32 v4, 0
	v_mov_b32_e32 v5, 0
	ds_store_b16 v1, v10 offset:1362
.LBB0_20:
	s_wait_alu 0xfffe
	s_or_b32 exec_lo, exec_lo, s0
	v_lshlrev_b64_e32 v[4:5], 2, v[4:5]
	s_add_nc_u64 s[0:1], s[4:5], 0xa5c
	s_wait_dscnt 0x0
	s_wait_alu 0xfffe
	s_delay_alu instid0(VALU_DEP_1)
	v_add_co_u32 v10, s0, s0, v4
	s_wait_alu 0xf1ff
	v_add_co_ci_u32_e64 v11, s0, s1, v5, s0
	s_clause 0x3
	global_load_b32 v1, v[10:11], off offset:272
	global_load_b32 v12, v[10:11], off offset:544
	;; [unrolled: 1-line block ×4, first 2 shown]
	ds_store_b16 v6, v9 offset:2722
	ds_store_b32 v22, v8
	ds_store_b16 v6, v7 offset:2720
	ds_load_b32 v7, v22 offset:272
	ds_load_b32 v8, v6 offset:2448
	s_wait_dscnt 0x0
	v_pk_add_f16 v9, v7, v8 neg_lo:[0,1] neg_hi:[0,1]
	v_pk_add_f16 v7, v7, v8
	s_delay_alu instid0(VALU_DEP_1) | instskip(SKIP_1) | instid1(VALU_DEP_2)
	v_bfi_b32 v8, 0xffff, v9, v7
	v_bfi_b32 v7, 0xffff, v7, v9
	v_pk_mul_f16 v8, v8, 0.5 op_sel_hi:[1,0]
	s_delay_alu instid0(VALU_DEP_2) | instskip(SKIP_1) | instid1(VALU_DEP_1)
	v_pk_mul_f16 v7, v7, 0.5 op_sel_hi:[1,0]
	s_wait_loadcnt 0x3
	v_pk_fma_f16 v9, v1, v8, v7 op_sel:[1,0,0]
	v_pk_mul_f16 v11, v1, v8 op_sel_hi:[0,1]
	v_pk_fma_f16 v14, v1, v8, v7 op_sel:[1,0,0] neg_lo:[1,0,0] neg_hi:[1,0,0]
	v_pk_fma_f16 v1, v1, v8, v7 op_sel:[1,0,0] neg_lo:[0,0,1] neg_hi:[0,0,1]
	s_delay_alu instid0(VALU_DEP_3) | instskip(SKIP_1) | instid1(VALU_DEP_4)
	v_pk_add_f16 v7, v9, v11 op_sel:[0,1] op_sel_hi:[1,0]
	v_pk_add_f16 v8, v9, v11 op_sel:[0,1] op_sel_hi:[1,0] neg_lo:[0,1] neg_hi:[0,1]
	v_pk_add_f16 v9, v14, v11 op_sel:[0,1] op_sel_hi:[1,0] neg_lo:[0,1] neg_hi:[0,1]
	s_delay_alu instid0(VALU_DEP_4) | instskip(NEXT) | instid1(VALU_DEP_3)
	v_pk_add_f16 v1, v1, v11 op_sel:[0,1] op_sel_hi:[1,0] neg_lo:[0,1] neg_hi:[0,1]
	v_bfi_b32 v7, 0xffff, v7, v8
	s_delay_alu instid0(VALU_DEP_2)
	v_bfi_b32 v1, 0xffff, v9, v1
	ds_store_b32 v22, v7 offset:272
	ds_store_b32 v6, v1 offset:2448
	ds_load_b32 v1, v22 offset:544
	ds_load_b32 v7, v6 offset:2176
	s_wait_dscnt 0x0
	v_pk_add_f16 v8, v1, v7 neg_lo:[0,1] neg_hi:[0,1]
	v_pk_add_f16 v1, v1, v7
	s_delay_alu instid0(VALU_DEP_1) | instskip(SKIP_1) | instid1(VALU_DEP_2)
	v_bfi_b32 v7, 0xffff, v8, v1
	v_bfi_b32 v1, 0xffff, v1, v8
	v_pk_mul_f16 v7, v7, 0.5 op_sel_hi:[1,0]
	s_delay_alu instid0(VALU_DEP_2) | instskip(SKIP_1) | instid1(VALU_DEP_2)
	v_pk_mul_f16 v1, v1, 0.5 op_sel_hi:[1,0]
	s_wait_loadcnt 0x2
	v_pk_mul_f16 v9, v12, v7 op_sel_hi:[0,1]
	s_delay_alu instid0(VALU_DEP_2) | instskip(SKIP_2) | instid1(VALU_DEP_3)
	v_pk_fma_f16 v8, v12, v7, v1 op_sel:[1,0,0]
	v_pk_fma_f16 v11, v12, v7, v1 op_sel:[1,0,0] neg_lo:[1,0,0] neg_hi:[1,0,0]
	v_pk_fma_f16 v1, v12, v7, v1 op_sel:[1,0,0] neg_lo:[0,0,1] neg_hi:[0,0,1]
	v_pk_add_f16 v7, v8, v9 op_sel:[0,1] op_sel_hi:[1,0]
	v_pk_add_f16 v8, v8, v9 op_sel:[0,1] op_sel_hi:[1,0] neg_lo:[0,1] neg_hi:[0,1]
	s_delay_alu instid0(VALU_DEP_4) | instskip(NEXT) | instid1(VALU_DEP_4)
	v_pk_add_f16 v11, v11, v9 op_sel:[0,1] op_sel_hi:[1,0] neg_lo:[0,1] neg_hi:[0,1]
	v_pk_add_f16 v1, v1, v9 op_sel:[0,1] op_sel_hi:[1,0] neg_lo:[0,1] neg_hi:[0,1]
	s_delay_alu instid0(VALU_DEP_3) | instskip(NEXT) | instid1(VALU_DEP_2)
	v_bfi_b32 v7, 0xffff, v7, v8
	v_bfi_b32 v1, 0xffff, v11, v1
	ds_store_b32 v22, v7 offset:544
	ds_store_b32 v6, v1 offset:2176
	ds_load_b32 v1, v22 offset:816
	ds_load_b32 v7, v6 offset:1904
	s_wait_dscnt 0x0
	v_pk_add_f16 v8, v1, v7 neg_lo:[0,1] neg_hi:[0,1]
	v_pk_add_f16 v1, v1, v7
	s_delay_alu instid0(VALU_DEP_1) | instskip(SKIP_1) | instid1(VALU_DEP_2)
	v_bfi_b32 v7, 0xffff, v8, v1
	v_bfi_b32 v1, 0xffff, v1, v8
	v_pk_mul_f16 v7, v7, 0.5 op_sel_hi:[1,0]
	s_delay_alu instid0(VALU_DEP_2) | instskip(SKIP_1) | instid1(VALU_DEP_2)
	v_pk_mul_f16 v1, v1, 0.5 op_sel_hi:[1,0]
	s_wait_loadcnt 0x1
	v_pk_mul_f16 v9, v13, v7 op_sel_hi:[0,1]
	s_delay_alu instid0(VALU_DEP_2) | instskip(SKIP_2) | instid1(VALU_DEP_3)
	v_pk_fma_f16 v8, v13, v7, v1 op_sel:[1,0,0]
	v_pk_fma_f16 v11, v13, v7, v1 op_sel:[1,0,0] neg_lo:[1,0,0] neg_hi:[1,0,0]
	v_pk_fma_f16 v1, v13, v7, v1 op_sel:[1,0,0] neg_lo:[0,0,1] neg_hi:[0,0,1]
	v_pk_add_f16 v7, v8, v9 op_sel:[0,1] op_sel_hi:[1,0]
	v_pk_add_f16 v8, v8, v9 op_sel:[0,1] op_sel_hi:[1,0] neg_lo:[0,1] neg_hi:[0,1]
	s_delay_alu instid0(VALU_DEP_4) | instskip(NEXT) | instid1(VALU_DEP_4)
	v_pk_add_f16 v11, v11, v9 op_sel:[0,1] op_sel_hi:[1,0] neg_lo:[0,1] neg_hi:[0,1]
	v_pk_add_f16 v1, v1, v9 op_sel:[0,1] op_sel_hi:[1,0] neg_lo:[0,1] neg_hi:[0,1]
	s_delay_alu instid0(VALU_DEP_3) | instskip(NEXT) | instid1(VALU_DEP_2)
	v_bfi_b32 v7, 0xffff, v7, v8
	;; [unrolled: 27-line block ×3, first 2 shown]
	v_bfi_b32 v1, 0xffff, v10, v1
	ds_store_b32 v22, v7 offset:1088
	ds_store_b32 v6, v1 offset:1632
	global_wb scope:SCOPE_SE
	s_wait_dscnt 0x0
	s_barrier_signal -1
	s_barrier_wait -1
	global_inv scope:SCOPE_SE
	s_and_saveexec_b32 s0, vcc_lo
	s_cbranch_execz .LBB0_23
; %bb.21:
	v_add_nc_u32_e32 v1, 0x400, v22
	v_add_nc_u32_e32 v14, 0x800, v22
	ds_load_2addr_b32 v[6:7], v22 offset1:68
	ds_load_2addr_b32 v[8:9], v22 offset0:136 offset1:204
	ds_load_2addr_b32 v[10:11], v1 offset0:16 offset1:84
	;; [unrolled: 1-line block ×4, first 2 shown]
	v_add_co_u32 v1, vcc_lo, s8, v2
	s_wait_alu 0xfffd
	v_add_co_ci_u32_e32 v2, vcc_lo, s9, v3, vcc_lo
	s_delay_alu instid0(VALU_DEP_2) | instskip(SKIP_1) | instid1(VALU_DEP_2)
	v_add_co_u32 v3, vcc_lo, v1, v4
	s_wait_alu 0xfffd
	v_add_co_ci_u32_e32 v4, vcc_lo, v2, v5, vcc_lo
	v_cmp_eq_u32_e32 vcc_lo, 0x43, v0
	s_wait_dscnt 0x4
	s_clause 0x1
	global_store_b32 v[3:4], v6, off
	global_store_b32 v[3:4], v7, off offset:272
	s_wait_dscnt 0x3
	s_clause 0x1
	global_store_b32 v[3:4], v8, off offset:544
	global_store_b32 v[3:4], v9, off offset:816
	s_wait_dscnt 0x2
	s_clause 0x1
	global_store_b32 v[3:4], v10, off offset:1088
	;; [unrolled: 4-line block ×4, first 2 shown]
	global_store_b32 v[3:4], v15, off offset:2448
	s_and_b32 exec_lo, exec_lo, vcc_lo
	s_cbranch_execz .LBB0_23
; %bb.22:
	ds_load_b32 v0, v22 offset:2452
	s_wait_dscnt 0x0
	global_store_b32 v[1:2], v0, off offset:2720
.LBB0_23:
	s_nop 0
	s_sendmsg sendmsg(MSG_DEALLOC_VGPRS)
	s_endpgm
	.section	.rodata,"a",@progbits
	.p2align	6, 0x0
	.amdhsa_kernel fft_rtc_back_len680_factors_17_4_10_wgs_204_tpt_68_halfLds_half_ip_CI_unitstride_sbrr_R2C_dirReg
		.amdhsa_group_segment_fixed_size 0
		.amdhsa_private_segment_fixed_size 0
		.amdhsa_kernarg_size 88
		.amdhsa_user_sgpr_count 2
		.amdhsa_user_sgpr_dispatch_ptr 0
		.amdhsa_user_sgpr_queue_ptr 0
		.amdhsa_user_sgpr_kernarg_segment_ptr 1
		.amdhsa_user_sgpr_dispatch_id 0
		.amdhsa_user_sgpr_private_segment_size 0
		.amdhsa_wavefront_size32 1
		.amdhsa_uses_dynamic_stack 0
		.amdhsa_enable_private_segment 0
		.amdhsa_system_sgpr_workgroup_id_x 1
		.amdhsa_system_sgpr_workgroup_id_y 0
		.amdhsa_system_sgpr_workgroup_id_z 0
		.amdhsa_system_sgpr_workgroup_info 0
		.amdhsa_system_vgpr_workitem_id 0
		.amdhsa_next_free_vgpr 143
		.amdhsa_next_free_sgpr 32
		.amdhsa_reserve_vcc 1
		.amdhsa_float_round_mode_32 0
		.amdhsa_float_round_mode_16_64 0
		.amdhsa_float_denorm_mode_32 3
		.amdhsa_float_denorm_mode_16_64 3
		.amdhsa_fp16_overflow 0
		.amdhsa_workgroup_processor_mode 1
		.amdhsa_memory_ordered 1
		.amdhsa_forward_progress 0
		.amdhsa_round_robin_scheduling 0
		.amdhsa_exception_fp_ieee_invalid_op 0
		.amdhsa_exception_fp_denorm_src 0
		.amdhsa_exception_fp_ieee_div_zero 0
		.amdhsa_exception_fp_ieee_overflow 0
		.amdhsa_exception_fp_ieee_underflow 0
		.amdhsa_exception_fp_ieee_inexact 0
		.amdhsa_exception_int_div_zero 0
	.end_amdhsa_kernel
	.text
.Lfunc_end0:
	.size	fft_rtc_back_len680_factors_17_4_10_wgs_204_tpt_68_halfLds_half_ip_CI_unitstride_sbrr_R2C_dirReg, .Lfunc_end0-fft_rtc_back_len680_factors_17_4_10_wgs_204_tpt_68_halfLds_half_ip_CI_unitstride_sbrr_R2C_dirReg
                                        ; -- End function
	.section	.AMDGPU.csdata,"",@progbits
; Kernel info:
; codeLenInByte = 11728
; NumSgprs: 34
; NumVgprs: 143
; ScratchSize: 0
; MemoryBound: 0
; FloatMode: 240
; IeeeMode: 1
; LDSByteSize: 0 bytes/workgroup (compile time only)
; SGPRBlocks: 4
; VGPRBlocks: 17
; NumSGPRsForWavesPerEU: 34
; NumVGPRsForWavesPerEU: 143
; Occupancy: 10
; WaveLimiterHint : 1
; COMPUTE_PGM_RSRC2:SCRATCH_EN: 0
; COMPUTE_PGM_RSRC2:USER_SGPR: 2
; COMPUTE_PGM_RSRC2:TRAP_HANDLER: 0
; COMPUTE_PGM_RSRC2:TGID_X_EN: 1
; COMPUTE_PGM_RSRC2:TGID_Y_EN: 0
; COMPUTE_PGM_RSRC2:TGID_Z_EN: 0
; COMPUTE_PGM_RSRC2:TIDIG_COMP_CNT: 0
	.text
	.p2alignl 7, 3214868480
	.fill 96, 4, 3214868480
	.type	__hip_cuid_ebbf81c2ca8cf7b1,@object ; @__hip_cuid_ebbf81c2ca8cf7b1
	.section	.bss,"aw",@nobits
	.globl	__hip_cuid_ebbf81c2ca8cf7b1
__hip_cuid_ebbf81c2ca8cf7b1:
	.byte	0                               ; 0x0
	.size	__hip_cuid_ebbf81c2ca8cf7b1, 1

	.ident	"AMD clang version 19.0.0git (https://github.com/RadeonOpenCompute/llvm-project roc-6.4.0 25133 c7fe45cf4b819c5991fe208aaa96edf142730f1d)"
	.section	".note.GNU-stack","",@progbits
	.addrsig
	.addrsig_sym __hip_cuid_ebbf81c2ca8cf7b1
	.amdgpu_metadata
---
amdhsa.kernels:
  - .args:
      - .actual_access:  read_only
        .address_space:  global
        .offset:         0
        .size:           8
        .value_kind:     global_buffer
      - .offset:         8
        .size:           8
        .value_kind:     by_value
      - .actual_access:  read_only
        .address_space:  global
        .offset:         16
        .size:           8
        .value_kind:     global_buffer
      - .actual_access:  read_only
        .address_space:  global
        .offset:         24
        .size:           8
        .value_kind:     global_buffer
      - .offset:         32
        .size:           8
        .value_kind:     by_value
      - .actual_access:  read_only
        .address_space:  global
        .offset:         40
        .size:           8
        .value_kind:     global_buffer
      - .actual_access:  read_only
        .address_space:  global
        .offset:         48
        .size:           8
        .value_kind:     global_buffer
      - .offset:         56
        .size:           4
        .value_kind:     by_value
      - .actual_access:  read_only
        .address_space:  global
        .offset:         64
        .size:           8
        .value_kind:     global_buffer
      - .actual_access:  read_only
        .address_space:  global
        .offset:         72
        .size:           8
        .value_kind:     global_buffer
      - .address_space:  global
        .offset:         80
        .size:           8
        .value_kind:     global_buffer
    .group_segment_fixed_size: 0
    .kernarg_segment_align: 8
    .kernarg_segment_size: 88
    .language:       OpenCL C
    .language_version:
      - 2
      - 0
    .max_flat_workgroup_size: 204
    .name:           fft_rtc_back_len680_factors_17_4_10_wgs_204_tpt_68_halfLds_half_ip_CI_unitstride_sbrr_R2C_dirReg
    .private_segment_fixed_size: 0
    .sgpr_count:     34
    .sgpr_spill_count: 0
    .symbol:         fft_rtc_back_len680_factors_17_4_10_wgs_204_tpt_68_halfLds_half_ip_CI_unitstride_sbrr_R2C_dirReg.kd
    .uniform_work_group_size: 1
    .uses_dynamic_stack: false
    .vgpr_count:     143
    .vgpr_spill_count: 0
    .wavefront_size: 32
    .workgroup_processor_mode: 1
amdhsa.target:   amdgcn-amd-amdhsa--gfx1201
amdhsa.version:
  - 1
  - 2
...

	.end_amdgpu_metadata
